;; amdgpu-corpus repo=ROCm/rocFFT kind=compiled arch=gfx906 opt=O3
	.text
	.amdgcn_target "amdgcn-amd-amdhsa--gfx906"
	.amdhsa_code_object_version 6
	.protected	fft_rtc_back_len3240_factors_3_3_10_6_6_wgs_108_tpt_108_halfLds_half_op_CI_CI_sbrr_dirReg ; -- Begin function fft_rtc_back_len3240_factors_3_3_10_6_6_wgs_108_tpt_108_halfLds_half_op_CI_CI_sbrr_dirReg
	.globl	fft_rtc_back_len3240_factors_3_3_10_6_6_wgs_108_tpt_108_halfLds_half_op_CI_CI_sbrr_dirReg
	.p2align	8
	.type	fft_rtc_back_len3240_factors_3_3_10_6_6_wgs_108_tpt_108_halfLds_half_op_CI_CI_sbrr_dirReg,@function
fft_rtc_back_len3240_factors_3_3_10_6_6_wgs_108_tpt_108_halfLds_half_op_CI_CI_sbrr_dirReg: ; @fft_rtc_back_len3240_factors_3_3_10_6_6_wgs_108_tpt_108_halfLds_half_op_CI_CI_sbrr_dirReg
; %bb.0:
	s_load_dwordx4 s[16:19], s[4:5], 0x18
	s_load_dwordx4 s[12:15], s[4:5], 0x0
	;; [unrolled: 1-line block ×3, first 2 shown]
	v_mul_u32_u24_e32 v1, 0x25f, v0
	v_mov_b32_e32 v7, 0
	s_waitcnt lgkmcnt(0)
	s_load_dwordx2 s[20:21], s[16:17], 0x0
	s_load_dwordx2 s[2:3], s[18:19], 0x0
	v_cmp_lt_u64_e64 s[0:1], s[14:15], 2
	v_mov_b32_e32 v5, 0
	v_add_u32_sdwa v9, s6, v1 dst_sel:DWORD dst_unused:UNUSED_PAD src0_sel:DWORD src1_sel:WORD_1
	v_mov_b32_e32 v10, v7
	s_and_b64 vcc, exec, s[0:1]
	v_mov_b32_e32 v6, 0
	s_cbranch_vccnz .LBB0_8
; %bb.1:
	s_load_dwordx2 s[0:1], s[4:5], 0x10
	s_add_u32 s6, s18, 8
	s_addc_u32 s7, s19, 0
	s_add_u32 s22, s16, 8
	s_addc_u32 s23, s17, 0
	v_mov_b32_e32 v5, 0
	s_waitcnt lgkmcnt(0)
	s_add_u32 s24, s0, 8
	v_mov_b32_e32 v6, 0
	v_mov_b32_e32 v1, v5
	s_addc_u32 s25, s1, 0
	s_mov_b64 s[26:27], 1
	v_mov_b32_e32 v2, v6
.LBB0_2:                                ; =>This Inner Loop Header: Depth=1
	s_load_dwordx2 s[28:29], s[24:25], 0x0
                                        ; implicit-def: $vgpr3_vgpr4
	s_waitcnt lgkmcnt(0)
	v_or_b32_e32 v8, s29, v10
	v_cmp_ne_u64_e32 vcc, 0, v[7:8]
	s_and_saveexec_b64 s[0:1], vcc
	s_xor_b64 s[30:31], exec, s[0:1]
	s_cbranch_execz .LBB0_4
; %bb.3:                                ;   in Loop: Header=BB0_2 Depth=1
	v_cvt_f32_u32_e32 v3, s28
	v_cvt_f32_u32_e32 v4, s29
	s_sub_u32 s0, 0, s28
	s_subb_u32 s1, 0, s29
	v_mac_f32_e32 v3, 0x4f800000, v4
	v_rcp_f32_e32 v3, v3
	v_mul_f32_e32 v3, 0x5f7ffffc, v3
	v_mul_f32_e32 v4, 0x2f800000, v3
	v_trunc_f32_e32 v4, v4
	v_mac_f32_e32 v3, 0xcf800000, v4
	v_cvt_u32_f32_e32 v4, v4
	v_cvt_u32_f32_e32 v3, v3
	v_mul_lo_u32 v8, s0, v4
	v_mul_hi_u32 v11, s0, v3
	v_mul_lo_u32 v13, s1, v3
	v_mul_lo_u32 v12, s0, v3
	v_add_u32_e32 v8, v11, v8
	v_add_u32_e32 v8, v8, v13
	v_mul_hi_u32 v11, v3, v12
	v_mul_lo_u32 v13, v3, v8
	v_mul_hi_u32 v15, v3, v8
	v_mul_hi_u32 v14, v4, v12
	v_mul_lo_u32 v12, v4, v12
	v_mul_hi_u32 v16, v4, v8
	v_add_co_u32_e32 v11, vcc, v11, v13
	v_addc_co_u32_e32 v13, vcc, 0, v15, vcc
	v_mul_lo_u32 v8, v4, v8
	v_add_co_u32_e32 v11, vcc, v11, v12
	v_addc_co_u32_e32 v11, vcc, v13, v14, vcc
	v_addc_co_u32_e32 v12, vcc, 0, v16, vcc
	v_add_co_u32_e32 v8, vcc, v11, v8
	v_addc_co_u32_e32 v11, vcc, 0, v12, vcc
	v_add_co_u32_e32 v3, vcc, v3, v8
	v_addc_co_u32_e32 v4, vcc, v4, v11, vcc
	v_mul_lo_u32 v8, s0, v4
	v_mul_hi_u32 v11, s0, v3
	v_mul_lo_u32 v12, s1, v3
	v_mul_lo_u32 v13, s0, v3
	v_add_u32_e32 v8, v11, v8
	v_add_u32_e32 v8, v8, v12
	v_mul_lo_u32 v14, v3, v8
	v_mul_hi_u32 v15, v3, v13
	v_mul_hi_u32 v16, v3, v8
	;; [unrolled: 1-line block ×3, first 2 shown]
	v_mul_lo_u32 v13, v4, v13
	v_mul_hi_u32 v11, v4, v8
	v_add_co_u32_e32 v14, vcc, v15, v14
	v_addc_co_u32_e32 v15, vcc, 0, v16, vcc
	v_mul_lo_u32 v8, v4, v8
	v_add_co_u32_e32 v13, vcc, v14, v13
	v_addc_co_u32_e32 v12, vcc, v15, v12, vcc
	v_addc_co_u32_e32 v11, vcc, 0, v11, vcc
	v_add_co_u32_e32 v8, vcc, v12, v8
	v_addc_co_u32_e32 v11, vcc, 0, v11, vcc
	v_add_co_u32_e32 v8, vcc, v3, v8
	v_addc_co_u32_e32 v11, vcc, v4, v11, vcc
	v_mad_u64_u32 v[3:4], s[0:1], v9, v11, 0
	v_mul_hi_u32 v12, v9, v8
	v_add_co_u32_e32 v13, vcc, v12, v3
	v_addc_co_u32_e32 v14, vcc, 0, v4, vcc
	v_mad_u64_u32 v[3:4], s[0:1], v10, v8, 0
	v_mad_u64_u32 v[11:12], s[0:1], v10, v11, 0
	v_add_co_u32_e32 v3, vcc, v13, v3
	v_addc_co_u32_e32 v3, vcc, v14, v4, vcc
	v_addc_co_u32_e32 v4, vcc, 0, v12, vcc
	v_add_co_u32_e32 v8, vcc, v3, v11
	v_addc_co_u32_e32 v11, vcc, 0, v4, vcc
	v_mul_lo_u32 v12, s29, v8
	v_mul_lo_u32 v13, s28, v11
	v_mad_u64_u32 v[3:4], s[0:1], s28, v8, 0
	v_add3_u32 v4, v4, v13, v12
	v_sub_u32_e32 v12, v10, v4
	v_mov_b32_e32 v13, s29
	v_sub_co_u32_e32 v3, vcc, v9, v3
	v_subb_co_u32_e64 v12, s[0:1], v12, v13, vcc
	v_subrev_co_u32_e64 v13, s[0:1], s28, v3
	v_subbrev_co_u32_e64 v12, s[0:1], 0, v12, s[0:1]
	v_cmp_le_u32_e64 s[0:1], s29, v12
	v_cndmask_b32_e64 v14, 0, -1, s[0:1]
	v_cmp_le_u32_e64 s[0:1], s28, v13
	v_cndmask_b32_e64 v13, 0, -1, s[0:1]
	v_cmp_eq_u32_e64 s[0:1], s29, v12
	v_cndmask_b32_e64 v12, v14, v13, s[0:1]
	v_add_co_u32_e64 v13, s[0:1], 2, v8
	v_addc_co_u32_e64 v14, s[0:1], 0, v11, s[0:1]
	v_add_co_u32_e64 v15, s[0:1], 1, v8
	v_addc_co_u32_e64 v16, s[0:1], 0, v11, s[0:1]
	v_subb_co_u32_e32 v4, vcc, v10, v4, vcc
	v_cmp_ne_u32_e64 s[0:1], 0, v12
	v_cmp_le_u32_e32 vcc, s29, v4
	v_cndmask_b32_e64 v12, v16, v14, s[0:1]
	v_cndmask_b32_e64 v14, 0, -1, vcc
	v_cmp_le_u32_e32 vcc, s28, v3
	v_cndmask_b32_e64 v3, 0, -1, vcc
	v_cmp_eq_u32_e32 vcc, s29, v4
	v_cndmask_b32_e32 v3, v14, v3, vcc
	v_cmp_ne_u32_e32 vcc, 0, v3
	v_cndmask_b32_e64 v3, v15, v13, s[0:1]
	v_cndmask_b32_e32 v4, v11, v12, vcc
	v_cndmask_b32_e32 v3, v8, v3, vcc
.LBB0_4:                                ;   in Loop: Header=BB0_2 Depth=1
	s_andn2_saveexec_b64 s[0:1], s[30:31]
	s_cbranch_execz .LBB0_6
; %bb.5:                                ;   in Loop: Header=BB0_2 Depth=1
	v_cvt_f32_u32_e32 v3, s28
	s_sub_i32 s30, 0, s28
	v_rcp_iflag_f32_e32 v3, v3
	v_mul_f32_e32 v3, 0x4f7ffffe, v3
	v_cvt_u32_f32_e32 v3, v3
	v_mul_lo_u32 v4, s30, v3
	v_mul_hi_u32 v4, v3, v4
	v_add_u32_e32 v3, v3, v4
	v_mul_hi_u32 v3, v9, v3
	v_mul_lo_u32 v4, v3, s28
	v_add_u32_e32 v8, 1, v3
	v_sub_u32_e32 v4, v9, v4
	v_subrev_u32_e32 v11, s28, v4
	v_cmp_le_u32_e32 vcc, s28, v4
	v_cndmask_b32_e32 v4, v4, v11, vcc
	v_cndmask_b32_e32 v3, v3, v8, vcc
	v_add_u32_e32 v8, 1, v3
	v_cmp_le_u32_e32 vcc, s28, v4
	v_cndmask_b32_e32 v3, v3, v8, vcc
	v_mov_b32_e32 v4, v7
.LBB0_6:                                ;   in Loop: Header=BB0_2 Depth=1
	s_or_b64 exec, exec, s[0:1]
	v_mul_lo_u32 v8, v4, s28
	v_mul_lo_u32 v13, v3, s29
	v_mad_u64_u32 v[11:12], s[0:1], v3, s28, 0
	s_load_dwordx2 s[0:1], s[22:23], 0x0
	s_load_dwordx2 s[28:29], s[6:7], 0x0
	v_add3_u32 v8, v12, v13, v8
	v_sub_co_u32_e32 v9, vcc, v9, v11
	v_subb_co_u32_e32 v8, vcc, v10, v8, vcc
	s_waitcnt lgkmcnt(0)
	v_mul_lo_u32 v10, s0, v8
	v_mul_lo_u32 v11, s1, v9
	v_mad_u64_u32 v[5:6], s[0:1], s0, v9, v[5:6]
	v_mul_lo_u32 v8, s28, v8
	v_mul_lo_u32 v12, s29, v9
	v_mad_u64_u32 v[1:2], s[0:1], s28, v9, v[1:2]
	s_add_u32 s26, s26, 1
	s_addc_u32 s27, s27, 0
	s_add_u32 s6, s6, 8
	v_add3_u32 v2, v12, v2, v8
	s_addc_u32 s7, s7, 0
	v_mov_b32_e32 v8, s14
	s_add_u32 s22, s22, 8
	v_mov_b32_e32 v9, s15
	s_addc_u32 s23, s23, 0
	v_cmp_ge_u64_e32 vcc, s[26:27], v[8:9]
	s_add_u32 s24, s24, 8
	v_add3_u32 v6, v11, v6, v10
	s_addc_u32 s25, s25, 0
	s_cbranch_vccnz .LBB0_9
; %bb.7:                                ;   in Loop: Header=BB0_2 Depth=1
	v_mov_b32_e32 v10, v4
	v_mov_b32_e32 v9, v3
	s_branch .LBB0_2
.LBB0_8:
	v_mov_b32_e32 v1, v5
	v_mov_b32_e32 v3, v9
	;; [unrolled: 1-line block ×4, first 2 shown]
.LBB0_9:
	s_load_dwordx2 s[0:1], s[4:5], 0x28
	s_lshl_b64 s[14:15], s[14:15], 3
	s_add_u32 s4, s18, s14
	s_addc_u32 s5, s19, s15
                                        ; implicit-def: $vgpr7
                                        ; implicit-def: $vgpr8
                                        ; implicit-def: $vgpr9
                                        ; implicit-def: $vgpr10
                                        ; implicit-def: $vgpr11
                                        ; implicit-def: $vgpr26
                                        ; implicit-def: $vgpr23
                                        ; implicit-def: $vgpr25
                                        ; implicit-def: $vgpr27
                                        ; implicit-def: $vgpr28
	s_waitcnt lgkmcnt(0)
	v_cmp_gt_u64_e32 vcc, s[0:1], v[3:4]
	v_cmp_le_u64_e64 s[0:1], s[0:1], v[3:4]
	s_and_saveexec_b64 s[6:7], s[0:1]
	s_xor_b64 s[0:1], exec, s[6:7]
	s_cbranch_execz .LBB0_11
; %bb.10:
	s_mov_b32 s6, 0x25ed098
	v_mul_hi_u32 v5, v0, s6
	v_mul_u32_u24_e32 v5, 0x6c, v5
	v_sub_u32_e32 v7, v0, v5
	v_add_u32_e32 v8, 0x6c, v7
	v_add_u32_e32 v9, 0xd8, v7
	;; [unrolled: 1-line block ×9, first 2 shown]
                                        ; implicit-def: $vgpr0
                                        ; implicit-def: $vgpr5_vgpr6
.LBB0_11:
	s_or_saveexec_b64 s[6:7], s[0:1]
                                        ; implicit-def: $vgpr67
                                        ; implicit-def: $vgpr64
                                        ; implicit-def: $vgpr68
                                        ; implicit-def: $vgpr63
                                        ; implicit-def: $vgpr69
                                        ; implicit-def: $vgpr22
                                        ; implicit-def: $vgpr71
                                        ; implicit-def: $vgpr65
                                        ; implicit-def: $vgpr72
                                        ; implicit-def: $vgpr66
                                        ; implicit-def: $vgpr73
                                        ; implicit-def: $vgpr24
                                        ; implicit-def: $vgpr76
                                        ; implicit-def: $vgpr57
                                        ; implicit-def: $vgpr77
                                        ; implicit-def: $vgpr58
                                        ; implicit-def: $vgpr78
                                        ; implicit-def: $vgpr20
                                        ; implicit-def: $vgpr82
                                        ; implicit-def: $vgpr59
                                        ; implicit-def: $vgpr83
                                        ; implicit-def: $vgpr60
                                        ; implicit-def: $vgpr84
                                        ; implicit-def: $vgpr21
                                        ; implicit-def: $vgpr86
                                        ; implicit-def: $vgpr61
                                        ; implicit-def: $vgpr87
                                        ; implicit-def: $vgpr62
                                        ; implicit-def: $vgpr88
                                        ; implicit-def: $vgpr15
                                        ; implicit-def: $vgpr90
                                        ; implicit-def: $vgpr41
                                        ; implicit-def: $vgpr91
                                        ; implicit-def: $vgpr42
                                        ; implicit-def: $vgpr92
                                        ; implicit-def: $vgpr14
                                        ; implicit-def: $vgpr94
                                        ; implicit-def: $vgpr44
                                        ; implicit-def: $vgpr95
                                        ; implicit-def: $vgpr45
                                        ; implicit-def: $vgpr96
                                        ; implicit-def: $vgpr18
                                        ; implicit-def: $vgpr98
                                        ; implicit-def: $vgpr46
                                        ; implicit-def: $vgpr100
                                        ; implicit-def: $vgpr29
                                        ; implicit-def: $vgpr101
                                        ; implicit-def: $vgpr12
                                        ; implicit-def: $vgpr102
                                        ; implicit-def: $vgpr30
                                        ; implicit-def: $vgpr103
                                        ; implicit-def: $vgpr31
                                        ; implicit-def: $vgpr104
                                        ; implicit-def: $vgpr13
                                        ; implicit-def: $vgpr32
                                        ; implicit-def: $vgpr16
                                        ; implicit-def: $vgpr33
                                        ; implicit-def: $vgpr17
                                        ; implicit-def: $vgpr34
                                        ; implicit-def: $vgpr19
	s_xor_b64 exec, exec, s[6:7]
	s_cbranch_execz .LBB0_13
; %bb.12:
	s_add_u32 s0, s16, s14
	s_mov_b32 s14, 0x25ed098
	v_mul_hi_u32 v7, v0, s14
	s_addc_u32 s1, s17, s15
	s_load_dwordx2 s[0:1], s[0:1], 0x0
	v_lshlrev_b64 v[5:6], 2, v[5:6]
	v_mul_u32_u24_e32 v7, 0x6c, v7
	v_sub_u32_e32 v7, v0, v7
	v_mad_u64_u32 v[8:9], s[14:15], s20, v7, 0
	s_waitcnt lgkmcnt(0)
	v_mul_lo_u32 v14, s1, v3
	v_mul_lo_u32 v15, s0, v4
	v_mad_u64_u32 v[10:11], s[0:1], s0, v3, 0
	v_mov_b32_e32 v0, v9
	v_mad_u64_u32 v[12:13], s[0:1], s21, v7, v[0:1]
	v_add3_u32 v11, v11, v15, v14
	v_lshlrev_b64 v[10:11], 2, v[10:11]
	v_mov_b32_e32 v9, v12
	v_mov_b32_e32 v0, s9
	v_add_co_u32_e64 v12, s[0:1], s8, v10
	v_add_u32_e32 v14, 0x438, v7
	v_addc_co_u32_e64 v13, s[0:1], v0, v11, s[0:1]
	v_mad_u64_u32 v[10:11], s[0:1], s20, v14, 0
	v_add_co_u32_e64 v0, s[0:1], v12, v5
	v_addc_co_u32_e64 v5, s[0:1], v13, v6, s[0:1]
	v_mov_b32_e32 v6, v11
	v_mad_u64_u32 v[11:12], s[0:1], s21, v14, v[6:7]
	v_add_u32_e32 v16, 0x870, v7
	v_mad_u64_u32 v[12:13], s[0:1], s20, v16, 0
	v_lshlrev_b64 v[8:9], 2, v[8:9]
	v_add_u32_e32 v19, 0x8dc, v7
	v_add_co_u32_e64 v14, s[0:1], v0, v8
	v_mov_b32_e32 v6, v13
	v_addc_co_u32_e64 v15, s[0:1], v5, v9, s[0:1]
	v_mad_u64_u32 v[16:17], s[0:1], s21, v16, v[6:7]
	v_add_u32_e32 v8, 0x6c, v7
	v_mad_u64_u32 v[17:18], s[0:1], s20, v8, 0
	v_lshlrev_b64 v[9:10], 2, v[10:11]
	v_mov_b32_e32 v13, v16
	v_add_co_u32_e64 v20, s[0:1], v0, v9
	v_mov_b32_e32 v6, v18
	v_addc_co_u32_e64 v21, s[0:1], v5, v10, s[0:1]
	v_lshlrev_b64 v[9:10], 2, v[12:13]
	v_mad_u64_u32 v[11:12], s[0:1], s21, v8, v[6:7]
	v_add_u32_e32 v16, 0x4a4, v7
	v_mad_u64_u32 v[12:13], s[0:1], s20, v16, 0
	v_add_co_u32_e64 v22, s[0:1], v0, v9
	v_mov_b32_e32 v18, v11
	v_mov_b32_e32 v6, v13
	v_addc_co_u32_e64 v23, s[0:1], v5, v10, s[0:1]
	v_lshlrev_b64 v[9:10], 2, v[17:18]
	v_mad_u64_u32 v[16:17], s[0:1], s21, v16, v[6:7]
	v_mad_u64_u32 v[17:18], s[0:1], s20, v19, 0
	v_add_co_u32_e64 v24, s[0:1], v0, v9
	v_add_u32_e32 v9, 0xd8, v7
	v_addc_co_u32_e64 v25, s[0:1], v5, v10, s[0:1]
	v_mov_b32_e32 v13, v16
	v_mov_b32_e32 v6, v18
	v_mad_u64_u32 v[26:27], s[0:1], s20, v9, 0
	v_lshlrev_b64 v[10:11], 2, v[12:13]
	v_mad_u64_u32 v[12:13], s[0:1], s21, v19, v[6:7]
	v_add_co_u32_e64 v32, s[0:1], v0, v10
	v_mov_b32_e32 v6, v27
	v_addc_co_u32_e64 v33, s[0:1], v5, v11, s[0:1]
	v_mov_b32_e32 v18, v12
	v_mad_u64_u32 v[12:13], s[0:1], s21, v9, v[6:7]
	v_add_u32_e32 v13, 0x510, v7
	v_lshlrev_b64 v[10:11], 2, v[17:18]
	v_mad_u64_u32 v[16:17], s[0:1], s20, v13, 0
	v_add_co_u32_e64 v34, s[0:1], v0, v10
	v_mov_b32_e32 v6, v17
	v_addc_co_u32_e64 v35, s[0:1], v5, v11, s[0:1]
	v_mov_b32_e32 v27, v12
	v_mad_u64_u32 v[12:13], s[0:1], s21, v13, v[6:7]
	v_lshlrev_b64 v[10:11], 2, v[26:27]
	v_add_u32_e32 v18, 0x5e8, v7
	v_add_co_u32_e64 v26, s[0:1], v0, v10
	v_mov_b32_e32 v17, v12
	v_add_u32_e32 v12, 0x948, v7
	v_addc_co_u32_e64 v27, s[0:1], v5, v11, s[0:1]
	v_mad_u64_u32 v[36:37], s[0:1], s20, v12, 0
	v_lshlrev_b64 v[10:11], 2, v[16:17]
	v_add_co_u32_e64 v38, s[0:1], v0, v10
	v_add_u32_e32 v10, 0x144, v7
	v_addc_co_u32_e64 v39, s[0:1], v5, v11, s[0:1]
	v_mov_b32_e32 v6, v37
	v_mad_u64_u32 v[40:41], s[0:1], s20, v10, 0
	v_mad_u64_u32 v[11:12], s[0:1], s21, v12, v[6:7]
	v_mov_b32_e32 v6, v41
	global_load_dword v19, v[14:15], off
	global_load_dword v17, v[20:21], off
	;; [unrolled: 1-line block ×8, first 2 shown]
	v_mov_b32_e32 v37, v11
	v_mad_u64_u32 v[20:21], s[0:1], s21, v10, v[6:7]
	v_add_u32_e32 v11, 0x57c, v7
	v_mad_u64_u32 v[21:22], s[0:1], s20, v11, 0
	v_lshlrev_b64 v[14:15], 2, v[36:37]
	v_mov_b32_e32 v41, v20
	v_add_co_u32_e64 v23, s[0:1], v0, v14
	v_mov_b32_e32 v6, v22
	v_addc_co_u32_e64 v24, s[0:1], v5, v15, s[0:1]
	v_mad_u64_u32 v[25:26], s[0:1], s21, v11, v[6:7]
	v_add_u32_e32 v11, 0x9b4, v7
	v_mad_u64_u32 v[26:27], s[0:1], s20, v11, 0
	v_lshlrev_b64 v[14:15], 2, v[40:41]
	v_mov_b32_e32 v22, v25
	v_add_co_u32_e64 v32, s[0:1], v0, v14
	v_mov_b32_e32 v6, v27
	v_addc_co_u32_e64 v33, s[0:1], v5, v15, s[0:1]
	v_lshlrev_b64 v[14:15], 2, v[21:22]
	v_mad_u64_u32 v[20:21], s[0:1], s21, v11, v[6:7]
	v_add_u32_e32 v11, 0x1b0, v7
	v_mad_u64_u32 v[21:22], s[0:1], s20, v11, 0
	v_add_co_u32_e64 v34, s[0:1], v0, v14
	v_mov_b32_e32 v27, v20
	v_mov_b32_e32 v6, v22
	v_addc_co_u32_e64 v35, s[0:1], v5, v15, s[0:1]
	v_lshlrev_b64 v[14:15], 2, v[26:27]
	v_mad_u64_u32 v[25:26], s[0:1], s21, v11, v[6:7]
	v_mad_u64_u32 v[26:27], s[0:1], s20, v18, 0
	v_add_co_u32_e64 v36, s[0:1], v0, v14
	v_mov_b32_e32 v22, v25
	v_mov_b32_e32 v6, v27
	v_addc_co_u32_e64 v37, s[0:1], v5, v15, s[0:1]
	v_lshlrev_b64 v[14:15], 2, v[21:22]
	v_mad_u64_u32 v[20:21], s[0:1], s21, v18, v[6:7]
	v_add_u32_e32 v18, 0xa20, v7
	v_mad_u64_u32 v[21:22], s[0:1], s20, v18, 0
	v_add_co_u32_e64 v38, s[0:1], v0, v14
	v_mov_b32_e32 v27, v20
	v_mov_b32_e32 v6, v22
	v_addc_co_u32_e64 v39, s[0:1], v5, v15, s[0:1]
	v_lshlrev_b64 v[14:15], 2, v[26:27]
	v_mad_u64_u32 v[25:26], s[0:1], s21, v18, v[6:7]
	v_add_u32_e32 v26, 0x21c, v7
	v_mad_u64_u32 v[27:28], s[0:1], s20, v26, 0
	v_add_co_u32_e64 v47, s[0:1], v0, v14
	v_mov_b32_e32 v22, v25
	v_mov_b32_e32 v6, v28
	v_addc_co_u32_e64 v48, s[0:1], v5, v15, s[0:1]
	v_lshlrev_b64 v[14:15], 2, v[21:22]
	v_mad_u64_u32 v[20:21], s[0:1], s21, v26, v[6:7]
	v_add_co_u32_e64 v21, s[0:1], v0, v14
	v_mov_b32_e32 v28, v20
	v_addc_co_u32_e64 v22, s[0:1], v5, v15, s[0:1]
	v_lshlrev_b64 v[14:15], 2, v[27:28]
	v_add_u32_e32 v18, 0x654, v7
	v_mad_u64_u32 v[27:28], s[0:1], s20, v18, 0
	v_add_co_u32_e64 v49, s[0:1], v0, v14
	v_add_u32_e32 v25, 0xa8c, v7
	v_addc_co_u32_e64 v50, s[0:1], v5, v15, s[0:1]
	v_mad_u64_u32 v[51:52], s[0:1], s20, v25, 0
	v_mov_b32_e32 v6, v28
	v_mad_u64_u32 v[40:41], s[0:1], s21, v18, v[6:7]
	v_mov_b32_e32 v6, v52
	global_load_dword v46, v[23:24], off
	global_load_dword v18, v[32:33], off
	;; [unrolled: 1-line block ×8, first 2 shown]
	v_mad_u64_u32 v[22:23], s[0:1], s21, v25, v[6:7]
	v_add_u32_e32 v23, 0x288, v7
	v_mad_u64_u32 v[24:25], s[0:1], s20, v23, 0
	v_mov_b32_e32 v28, v40
	v_lshlrev_b64 v[20:21], 2, v[27:28]
	v_mov_b32_e32 v52, v22
	v_add_co_u32_e64 v32, s[0:1], v0, v20
	v_mov_b32_e32 v6, v25
	v_add_u32_e32 v22, 0x6c0, v7
	v_addc_co_u32_e64 v33, s[0:1], v5, v21, s[0:1]
	v_mad_u64_u32 v[27:28], s[0:1], s21, v23, v[6:7]
	v_mad_u64_u32 v[34:35], s[0:1], s20, v22, 0
	v_lshlrev_b64 v[20:21], 2, v[51:52]
	v_mov_b32_e32 v25, v27
	v_add_co_u32_e64 v36, s[0:1], v0, v20
	v_mov_b32_e32 v6, v35
	v_addc_co_u32_e64 v37, s[0:1], v5, v21, s[0:1]
	v_lshlrev_b64 v[20:21], 2, v[24:25]
	v_mad_u64_u32 v[24:25], s[0:1], s21, v22, v[6:7]
	v_add_u32_e32 v22, 0xaf8, v7
	v_mad_u64_u32 v[27:28], s[0:1], s20, v22, 0
	v_add_co_u32_e64 v38, s[0:1], v0, v20
	v_mov_b32_e32 v6, v28
	v_addc_co_u32_e64 v39, s[0:1], v5, v21, s[0:1]
	v_mov_b32_e32 v35, v24
	v_mad_u64_u32 v[24:25], s[0:1], s21, v22, v[6:7]
	v_add_u32_e32 v25, 0x2f4, v7
	v_lshlrev_b64 v[20:21], 2, v[34:35]
	v_mad_u64_u32 v[34:35], s[0:1], s20, v25, 0
	v_add_co_u32_e64 v47, s[0:1], v0, v20
	v_add_u32_e32 v22, 0x72c, v7
	v_addc_co_u32_e64 v48, s[0:1], v5, v21, s[0:1]
	v_mov_b32_e32 v28, v24
	v_mov_b32_e32 v6, v35
	v_mad_u64_u32 v[49:50], s[0:1], s20, v22, 0
	v_lshlrev_b64 v[20:21], 2, v[27:28]
	v_mad_u64_u32 v[27:28], s[0:1], s21, v25, v[6:7]
	v_add_co_u32_e64 v51, s[0:1], v0, v20
	v_mov_b32_e32 v6, v50
	v_addc_co_u32_e64 v52, s[0:1], v5, v21, s[0:1]
	v_mov_b32_e32 v35, v27
	v_mad_u64_u32 v[27:28], s[0:1], s21, v22, v[6:7]
	v_add_u32_e32 v22, 0xb64, v7
	v_lshlrev_b64 v[20:21], 2, v[34:35]
	v_mad_u64_u32 v[34:35], s[0:1], s20, v22, 0
	v_add_co_u32_e64 v53, s[0:1], v0, v20
	v_mov_b32_e32 v6, v35
	v_addc_co_u32_e64 v54, s[0:1], v5, v21, s[0:1]
	v_mov_b32_e32 v50, v27
	v_mad_u64_u32 v[27:28], s[0:1], s21, v22, v[6:7]
	v_lshlrev_b64 v[20:21], 2, v[49:50]
	v_add_u32_e32 v22, 0x798, v7
	v_add_co_u32_e64 v49, s[0:1], v0, v20
	v_mov_b32_e32 v35, v27
	v_add_u32_e32 v27, 0x360, v7
	v_addc_co_u32_e64 v50, s[0:1], v5, v21, s[0:1]
	v_lshlrev_b64 v[20:21], 2, v[34:35]
	v_mad_u64_u32 v[34:35], s[0:1], s20, v27, 0
	v_add_co_u32_e64 v55, s[0:1], v0, v20
	v_mov_b32_e32 v6, v35
	v_addc_co_u32_e64 v56, s[0:1], v5, v21, s[0:1]
	v_mad_u64_u32 v[63:64], s[0:1], s21, v27, v[6:7]
	v_mad_u64_u32 v[64:65], s[0:1], s20, v22, 0
	v_mov_b32_e32 v35, v63
	global_load_dword v62, v[32:33], off
	global_load_dword v61, v[36:37], off
	;; [unrolled: 1-line block ×8, first 2 shown]
	v_mov_b32_e32 v6, v65
	v_lshlrev_b64 v[32:33], 2, v[34:35]
	v_mad_u64_u32 v[34:35], s[0:1], s21, v22, v[6:7]
	v_add_u32_e32 v22, 0xbd0, v7
	v_mad_u64_u32 v[35:36], s[0:1], s20, v22, 0
	v_add_co_u32_e64 v32, s[0:1], v0, v32
	v_add_u32_e32 v28, 0x3cc, v7
	v_addc_co_u32_e64 v33, s[0:1], v5, v33, s[0:1]
	v_mov_b32_e32 v6, v36
	v_mad_u64_u32 v[47:48], s[0:1], s20, v28, 0
	v_mov_b32_e32 v65, v34
	v_mad_u64_u32 v[39:40], s[0:1], s21, v22, v[6:7]
	v_lshlrev_b64 v[37:38], 2, v[64:65]
	v_mov_b32_e32 v6, v48
	v_add_co_u32_e64 v37, s[0:1], v0, v37
	v_add_u32_e32 v22, 0x804, v7
	v_addc_co_u32_e64 v38, s[0:1], v5, v38, s[0:1]
	v_mov_b32_e32 v36, v39
	v_mad_u64_u32 v[39:40], s[0:1], s21, v28, v[6:7]
	v_mad_u64_u32 v[49:50], s[0:1], s20, v22, 0
	v_lshlrev_b64 v[34:35], 2, v[35:36]
	v_mov_b32_e32 v48, v39
	v_add_co_u32_e64 v34, s[0:1], v0, v34
	v_mov_b32_e32 v6, v50
	v_addc_co_u32_e64 v35, s[0:1], v5, v35, s[0:1]
	v_lshlrev_b64 v[39:40], 2, v[47:48]
	v_mad_u64_u32 v[47:48], s[0:1], s21, v22, v[6:7]
	v_add_u32_e32 v22, 0xc3c, v7
	v_mad_u64_u32 v[51:52], s[0:1], s20, v22, 0
	v_add_co_u32_e64 v39, s[0:1], v0, v39
	v_mov_b32_e32 v50, v47
	v_mov_b32_e32 v6, v52
	v_addc_co_u32_e64 v40, s[0:1], v5, v40, s[0:1]
	v_lshlrev_b64 v[47:48], 2, v[49:50]
	v_mad_u64_u32 v[49:50], s[0:1], s21, v22, v[6:7]
	v_add_co_u32_e64 v47, s[0:1], v0, v47
	v_mov_b32_e32 v52, v49
	v_lshlrev_b64 v[49:50], 2, v[51:52]
	v_addc_co_u32_e64 v48, s[0:1], v5, v48, s[0:1]
	v_add_co_u32_e64 v49, s[0:1], v0, v49
	v_addc_co_u32_e64 v50, s[0:1], v5, v50, s[0:1]
	global_load_dword v24, v[32:33], off
	global_load_dword v66, v[37:38], off
	;; [unrolled: 1-line block ×6, first 2 shown]
	s_waitcnt vmcnt(29)
	v_lshrrev_b32_e32 v34, 16, v19
	s_waitcnt vmcnt(28)
	v_lshrrev_b32_e32 v33, 16, v17
	;; [unrolled: 2-line block ×30, first 2 shown]
.LBB0_13:
	s_or_b64 exec, exec, s[6:7]
	v_add_f16_e32 v5, v16, v17
	v_fma_f16 v5, v5, -0.5, v19
	v_sub_f16_e32 v6, v33, v32
	s_mov_b32 s6, 0xbaee
	s_movk_i32 s7, 0x3aee
	v_add_f16_e32 v0, v17, v19
	v_fma_f16 v19, v6, s6, v5
	v_fma_f16 v5, v6, s7, v5
	v_add_f16_e32 v6, v33, v34
	v_add_f16_e32 v105, v32, v6
	;; [unrolled: 1-line block ×4, first 2 shown]
	v_fma_f16 v6, v6, -0.5, v34
	v_sub_f16_e32 v16, v17, v16
	v_fma_f16 v106, v16, s7, v6
	v_fma_f16 v107, v16, s6, v6
	v_add_f16_e32 v6, v30, v31
	v_fma_f16 v6, v6, -0.5, v13
	v_sub_f16_e32 v16, v103, v102
	v_fma_f16 v17, v16, s6, v6
	v_fma_f16 v6, v16, s7, v6
	v_add_f16_e32 v16, v46, v29
	v_mad_u32_u24 v108, v7, 6, 0
	v_fma_f16 v16, v16, -0.5, v12
	v_sub_f16_e32 v32, v100, v98
	ds_write_b16 v108, v0
	ds_write_b16 v108, v19 offset:2
	ds_write_b16 v108, v5 offset:4
	v_add_f16_e32 v0, v31, v13
	v_fma_f16 v33, v32, s6, v16
	v_fma_f16 v16, v32, s7, v16
	v_add_f16_e32 v32, v44, v45
	v_add_f16_e32 v0, v30, v0
	v_mad_i32_i24 v109, v8, 6, 0
	v_fma_f16 v32, v32, -0.5, v18
	v_sub_f16_e32 v34, v95, v94
	ds_write_b16 v109, v0
	ds_write_b16 v109, v17 offset:2
	ds_write_b16 v109, v6 offset:4
	v_add_f16_e32 v0, v29, v12
	v_fma_f16 v35, v34, s6, v32
	v_fma_f16 v32, v34, s7, v32
	v_add_f16_e32 v34, v41, v42
	v_add_f16_e32 v0, v46, v0
	v_mad_i32_i24 v110, v9, 6, 0
	v_fma_f16 v34, v34, -0.5, v14
	v_sub_f16_e32 v36, v91, v90
	ds_write_b16 v110, v0
	ds_write_b16 v110, v33 offset:2
	ds_write_b16 v110, v16 offset:4
	v_add_f16_e32 v0, v45, v18
	v_fma_f16 v37, v36, s6, v34
	v_fma_f16 v34, v36, s7, v34
	v_add_f16_e32 v36, v61, v62
	v_add_f16_e32 v0, v44, v0
	v_mad_i32_i24 v13, v10, 6, 0
	v_fma_f16 v36, v36, -0.5, v15
	v_sub_f16_e32 v38, v87, v86
	ds_write_b16 v13, v0
	ds_write_b16 v13, v35 offset:2
	ds_write_b16 v13, v32 offset:4
	v_add_f16_e32 v0, v42, v14
	v_fma_f16 v39, v38, s6, v36
	v_fma_f16 v36, v38, s7, v36
	v_add_f16_e32 v38, v59, v60
	v_add_f16_e32 v0, v41, v0
	v_mad_i32_i24 v14, v11, 6, 0
	v_fma_f16 v38, v38, -0.5, v21
	v_sub_f16_e32 v40, v83, v82
	ds_write_b16 v14, v0
	v_add_f16_e32 v0, v62, v15
	v_fma_f16 v43, v40, s6, v38
	v_fma_f16 v38, v40, s7, v38
	v_add_f16_e32 v40, v57, v58
	v_add_f16_e32 v5, v61, v0
	;; [unrolled: 1-line block ×3, first 2 shown]
	v_fma_f16 v40, v40, -0.5, v20
	v_sub_f16_e32 v47, v77, v76
	v_add_f16_e32 v6, v59, v0
	v_add_f16_e32 v0, v58, v20
	v_fma_f16 v48, v47, s6, v40
	v_fma_f16 v40, v47, s7, v40
	v_add_f16_e32 v47, v65, v66
	v_add_f16_e32 v12, v57, v0
	v_add_f16_e32 v0, v66, v24
	v_fma_f16 v47, v47, -0.5, v24
	v_sub_f16_e32 v49, v72, v71
	v_add_f16_e32 v15, v65, v0
	v_add_f16_e32 v0, v63, v22
	v_mad_i32_i24 v112, v25, 6, 0
	v_lshlrev_b32_e32 v19, 2, v25
	v_fma_f16 v50, v49, s6, v47
	v_fma_f16 v47, v49, s7, v47
	v_add_f16_e32 v49, v64, v63
	s_load_dwordx2 s[4:5], s[4:5], 0x0
	v_add_f16_e32 v16, v64, v0
	ds_write_b16 v14, v37 offset:2
	ds_write_b16 v14, v34 offset:4
	v_mad_i32_i24 v0, v26, 6, 0
	v_mad_i32_i24 v113, v27, 6, 0
	v_sub_u32_e32 v37, v112, v19
	v_lshlrev_b32_e32 v19, 2, v27
	v_fma_f16 v49, v49, -0.5, v22
	v_sub_f16_e32 v51, v68, v67
	ds_write_b16 v0, v5
	ds_write_b16 v0, v39 offset:2
	ds_write_b16 v0, v36 offset:4
	v_mad_i32_i24 v111, v23, 6, 0
	v_mad_i32_i24 v114, v28, 6, 0
	v_lshlrev_b32_e32 v17, 2, v10
	v_sub_u32_e32 v39, v113, v19
	v_lshlrev_b32_e32 v19, 2, v28
	v_fma_f16 v52, v51, s6, v49
	v_fma_f16 v49, v51, s7, v49
	ds_write_b16 v111, v6
	ds_write_b16 v111, v43 offset:2
	ds_write_b16 v111, v38 offset:4
	ds_write_b16 v112, v12
	ds_write_b16 v112, v48 offset:2
	ds_write_b16 v112, v40 offset:4
	v_lshl_add_u32 v12, v7, 1, 0
	v_sub_u32_e32 v20, v13, v17
	v_lshlrev_b32_e32 v18, 2, v11
	v_lshlrev_b32_e32 v6, 2, v23
	v_sub_u32_e32 v24, v114, v19
	v_lshlrev_b32_e32 v19, 2, v26
	ds_write_b16 v113, v15
	ds_write_b16 v113, v50 offset:2
	ds_write_b16 v113, v47 offset:4
	ds_write_b16 v114, v16
	ds_write_b16 v114, v52 offset:2
	ds_write_b16 v114, v49 offset:4
	s_waitcnt lgkmcnt(0)
	s_barrier
	v_lshl_add_u32 v15, v8, 1, 0
	v_lshl_add_u32 v16, v9, 1, 0
	ds_read_u16 v5, v20
	v_sub_u32_e32 v6, v111, v6
	v_sub_u32_e32 v21, v14, v18
	ds_read_u16 v80, v12 offset:4752
	ds_read_u16 v75, v12 offset:4968
	;; [unrolled: 1-line block ×3, first 2 shown]
	v_sub_u32_e32 v22, v0, v19
	ds_read_u16 v47, v12
	ds_read_u16 v99, v12 offset:2160
	ds_read_u16 v89, v12 offset:2376
	;; [unrolled: 1-line block ×13, first 2 shown]
	ds_read_u16 v38, v21
	ds_read_u16 v36, v22
	;; [unrolled: 1-line block ×6, first 2 shown]
	ds_read_u16 v93, v12 offset:4536
	ds_read_u16 v97, v12 offset:4320
	;; [unrolled: 1-line block ×3, first 2 shown]
	ds_read_u16 v40, v16
	ds_read_u16 v43, v15
	ds_read_u16 v50, v12 offset:6264
	s_waitcnt lgkmcnt(0)
	s_barrier
	ds_write_b16 v108, v105
	ds_write_b16 v108, v106 offset:2
	ds_write_b16 v108, v107 offset:4
	v_add_f16_e32 v105, v103, v104
	v_add_f16_e32 v105, v102, v105
	;; [unrolled: 1-line block ×3, first 2 shown]
	v_fma_f16 v102, v102, -0.5, v104
	v_sub_f16_e32 v30, v31, v30
	v_fma_f16 v31, v30, s7, v102
	v_fma_f16 v30, v30, s6, v102
	ds_write_b16 v109, v105
	ds_write_b16 v109, v31 offset:2
	ds_write_b16 v109, v30 offset:4
	v_add_f16_e32 v31, v98, v100
	v_add_f16_e32 v30, v100, v101
	v_fma_f16 v31, v31, -0.5, v101
	v_sub_f16_e32 v29, v29, v46
	v_add_f16_e32 v30, v98, v30
	v_fma_f16 v46, v29, s7, v31
	v_fma_f16 v29, v29, s6, v31
	ds_write_b16 v110, v30
	ds_write_b16 v110, v46 offset:2
	ds_write_b16 v110, v29 offset:4
	v_add_f16_e32 v46, v86, v87
	v_fma_f16 v46, v46, -0.5, v88
	v_sub_f16_e32 v61, v62, v61
	v_fma_f16 v62, v61, s7, v46
	v_fma_f16 v46, v61, s6, v46
	v_add_f16_e32 v61, v83, v84
	v_add_f16_e32 v61, v82, v61
	v_add_f16_e32 v82, v82, v83
	v_fma_f16 v82, v82, -0.5, v84
	v_sub_f16_e32 v59, v60, v59
	v_fma_f16 v60, v59, s7, v82
	v_fma_f16 v59, v59, s6, v82
	v_add_f16_e32 v82, v77, v78
	v_add_f16_e32 v82, v76, v82
	;; [unrolled: 7-line block ×3, first 2 shown]
	v_add_f16_e32 v71, v71, v72
	v_fma_f16 v71, v71, -0.5, v73
	v_sub_f16_e32 v65, v66, v65
	v_add_f16_e32 v30, v94, v95
	v_sub_f16_e32 v31, v45, v44
	v_add_f16_e32 v45, v90, v91
	v_fma_f16 v66, v65, s7, v71
	v_fma_f16 v65, v65, s6, v71
	v_add_f16_e32 v71, v68, v69
	v_add_f16_e32 v29, v95, v96
	v_fma_f16 v30, v30, -0.5, v96
	v_fma_f16 v45, v45, -0.5, v92
	v_sub_f16_e32 v41, v42, v41
	v_add_f16_e32 v71, v67, v71
	v_add_f16_e32 v67, v67, v68
	;; [unrolled: 1-line block ×3, first 2 shown]
	v_fma_f16 v44, v31, s7, v30
	v_fma_f16 v30, v31, s6, v30
	v_add_f16_e32 v31, v91, v92
	v_fma_f16 v42, v41, s7, v45
	v_fma_f16 v41, v41, s6, v45
	v_add_f16_e32 v45, v87, v88
	v_fma_f16 v67, v67, -0.5, v69
	v_sub_f16_e32 v63, v63, v64
	s_movk_i32 s0, 0xab
	v_add_f16_e32 v31, v90, v31
	v_add_f16_e32 v45, v86, v45
	v_fma_f16 v64, v63, s7, v67
	v_fma_f16 v63, v63, s6, v67
	ds_write_b16 v13, v29
	ds_write_b16 v13, v44 offset:2
	ds_write_b16 v13, v30 offset:4
	ds_write_b16 v14, v31
	ds_write_b16 v14, v42 offset:2
	ds_write_b16 v14, v41 offset:4
	;; [unrolled: 3-line block ×7, first 2 shown]
	v_mul_lo_u16_sdwa v29, v7, s0 dst_sel:DWORD dst_unused:UNUSED_PAD src0_sel:BYTE_0 src1_sel:DWORD
	v_lshrrev_b16_e32 v29, 9, v29
	v_mul_lo_u16_e32 v30, 3, v29
	v_sub_u16_e32 v31, v7, v30
	v_mov_b32_e32 v42, 3
	v_lshlrev_b32_sdwa v30, v42, v31 dst_sel:DWORD dst_unused:UNUSED_PAD src0_sel:DWORD src1_sel:BYTE_0
	s_waitcnt lgkmcnt(0)
	s_barrier
	global_load_dwordx2 v[60:61], v30, s[12:13]
	v_mul_lo_u16_sdwa v30, v8, s0 dst_sel:DWORD dst_unused:UNUSED_PAD src0_sel:BYTE_0 src1_sel:DWORD
	v_lshrrev_b16_e32 v30, 9, v30
	v_mul_lo_u16_e32 v41, 3, v30
	v_sub_u16_e32 v41, v8, v41
	v_lshlrev_b32_sdwa v42, v42, v41 dst_sel:DWORD dst_unused:UNUSED_PAD src0_sel:DWORD src1_sel:BYTE_0
	s_mov_b32 s0, 0xaaab
	global_load_dwordx2 v[62:63], v42, s[12:13]
	v_mul_u32_u24_sdwa v42, v9, s0 dst_sel:DWORD dst_unused:UNUSED_PAD src0_sel:WORD_0 src1_sel:DWORD
	v_lshrrev_b32_e32 v44, 17, v42
	v_mul_lo_u16_e32 v42, 3, v44
	v_sub_u16_e32 v46, v9, v42
	v_lshlrev_b32_e32 v42, 3, v46
	global_load_dwordx2 v[64:65], v42, s[12:13]
	v_mul_u32_u24_sdwa v42, v10, s0 dst_sel:DWORD dst_unused:UNUSED_PAD src0_sel:WORD_0 src1_sel:DWORD
	v_lshrrev_b32_e32 v42, 17, v42
	v_mul_lo_u16_e32 v45, 3, v42
	v_sub_u16_e32 v45, v10, v45
	v_lshlrev_b32_e32 v57, 3, v45
	;; [unrolled: 6-line block ×4, first 2 shown]
	v_mul_u32_u24_sdwa v76, v23, s0 dst_sel:DWORD dst_unused:UNUSED_PAD src0_sel:WORD_0 src1_sel:DWORD
	global_load_dwordx2 v[71:72], v71, s[12:13]
	v_lshrrev_b32_e32 v95, 17, v76
	v_mul_lo_u16_e32 v76, 3, v95
	v_sub_u16_e32 v96, v23, v76
	ds_read_u16 v73, v12 offset:2160
	ds_read_u16 v78, v12 offset:2376
	;; [unrolled: 1-line block ×7, first 2 shown]
	ds_read_u16 v94, v12
	v_lshlrev_b32_e32 v23, 3, v96
	global_load_dwordx2 v[76:77], v23, s[12:13]
	v_mul_u32_u24_sdwa v86, v27, s0 dst_sel:DWORD dst_unused:UNUSED_PAD src0_sel:WORD_0 src1_sel:DWORD
	v_lshrrev_b32_e32 v98, 17, v86
	v_mul_lo_u16_e32 v86, 3, v98
	v_mul_u32_u24_e32 v29, 18, v29
	v_mul_u32_u24_e32 v30, 18, v30
	s_mov_b32 s14, 0xbb9c
	s_movk_i32 s1, 0x3b9c
	s_mov_b32 s9, 0xb8b4
	s_movk_i32 s8, 0x34f2
	s_mov_b32 s15, 0xb4f2
	s_mov_b32 s16, 0xba79
	s_movk_i32 s17, 0x3a79
	s_waitcnt vmcnt(6) lgkmcnt(7)
	v_mul_f16_sdwa v82, v73, v60 dst_sel:DWORD dst_unused:UNUSED_PAD src0_sel:DWORD src1_sel:WORD_1
	v_fma_f16 v23, v99, v60, v82
	v_mul_f16_sdwa v82, v99, v60 dst_sel:DWORD dst_unused:UNUSED_PAD src0_sel:DWORD src1_sel:WORD_1
	v_fma_f16 v60, v73, v60, -v82
	v_mul_u32_u24_sdwa v73, v25, s0 dst_sel:DWORD dst_unused:UNUSED_PAD src0_sel:WORD_0 src1_sel:DWORD
	v_lshrrev_b32_e32 v73, 17, v73
	v_mul_lo_u16_e32 v82, 3, v73
	v_sub_u16_e32 v25, v25, v82
	v_lshlrev_b32_e32 v82, 3, v25
	global_load_dwordx2 v[82:83], v82, s[12:13]
	v_sub_u16_e32 v99, v27, v86
	v_lshlrev_b32_e32 v27, 3, v99
	global_load_dwordx2 v[86:87], v27, s[12:13]
	v_mul_u32_u24_sdwa v27, v28, s0 dst_sel:DWORD dst_unused:UNUSED_PAD src0_sel:WORD_0 src1_sel:DWORD
	v_lshrrev_b32_e32 v105, 17, v27
	v_mul_lo_u16_e32 v27, 3, v105
	v_sub_u16_e32 v106, v28, v27
	v_lshlrev_b32_e32 v27, 3, v106
	ds_read_u16 v100, v12 offset:4320
	ds_read_u16 v101, v12 offset:4536
	;; [unrolled: 1-line block ×5, first 2 shown]
	global_load_dwordx2 v[27:28], v27, s[12:13]
	s_waitcnt lgkmcnt(4)
	v_mul_f16_sdwa v108, v100, v61 dst_sel:DWORD dst_unused:UNUSED_PAD src0_sel:DWORD src1_sel:WORD_1
	v_fma_f16 v108, v97, v61, v108
	v_mul_f16_sdwa v97, v97, v61 dst_sel:DWORD dst_unused:UNUSED_PAD src0_sel:DWORD src1_sel:WORD_1
	v_fma_f16 v61, v100, v61, -v97
	s_waitcnt vmcnt(8)
	v_mul_f16_sdwa v97, v78, v62 dst_sel:DWORD dst_unused:UNUSED_PAD src0_sel:DWORD src1_sel:WORD_1
	v_fma_f16 v97, v89, v62, v97
	v_mul_f16_sdwa v89, v89, v62 dst_sel:DWORD dst_unused:UNUSED_PAD src0_sel:DWORD src1_sel:WORD_1
	v_fma_f16 v62, v78, v62, -v89
	s_waitcnt lgkmcnt(3)
	v_mul_f16_sdwa v78, v101, v63 dst_sel:DWORD dst_unused:UNUSED_PAD src0_sel:DWORD src1_sel:WORD_1
	v_mul_f16_sdwa v89, v93, v63 dst_sel:DWORD dst_unused:UNUSED_PAD src0_sel:DWORD src1_sel:WORD_1
	v_fma_f16 v78, v93, v63, v78
	v_fma_f16 v63, v101, v63, -v89
	s_waitcnt vmcnt(7)
	v_mul_f16_sdwa v89, v84, v64 dst_sel:DWORD dst_unused:UNUSED_PAD src0_sel:DWORD src1_sel:WORD_1
	v_fma_f16 v89, v85, v64, v89
	v_mul_f16_sdwa v85, v85, v64 dst_sel:DWORD dst_unused:UNUSED_PAD src0_sel:DWORD src1_sel:WORD_1
	v_fma_f16 v64, v84, v64, -v85
	s_waitcnt lgkmcnt(2)
	v_mul_f16_sdwa v84, v102, v65 dst_sel:DWORD dst_unused:UNUSED_PAD src0_sel:DWORD src1_sel:WORD_1
	v_fma_f16 v84, v80, v65, v84
	v_mul_f16_sdwa v80, v80, v65 dst_sel:DWORD dst_unused:UNUSED_PAD src0_sel:DWORD src1_sel:WORD_1
	v_fma_f16 v65, v102, v65, -v80
	s_waitcnt vmcnt(6)
	v_mul_f16_sdwa v80, v88, v66 dst_sel:DWORD dst_unused:UNUSED_PAD src0_sel:DWORD src1_sel:WORD_1
	v_fma_f16 v80, v81, v66, v80
	v_mul_f16_sdwa v81, v81, v66 dst_sel:DWORD dst_unused:UNUSED_PAD src0_sel:DWORD src1_sel:WORD_1
	v_fma_f16 v66, v88, v66, -v81
	s_waitcnt lgkmcnt(1)
	v_mul_f16_sdwa v81, v103, v67 dst_sel:DWORD dst_unused:UNUSED_PAD src0_sel:DWORD src1_sel:WORD_1
	v_fma_f16 v81, v75, v67, v81
	v_mul_f16_sdwa v75, v75, v67 dst_sel:DWORD dst_unused:UNUSED_PAD src0_sel:DWORD src1_sel:WORD_1
	;; [unrolled: 10-line block ×3, first 2 shown]
	v_fma_f16 v69, v104, v69, -v70
	s_waitcnt vmcnt(4)
	v_mul_f16_sdwa v70, v91, v71 dst_sel:DWORD dst_unused:UNUSED_PAD src0_sel:DWORD src1_sel:WORD_1
	v_fma_f16 v70, v74, v71, v70
	v_mul_f16_sdwa v74, v74, v71 dst_sel:DWORD dst_unused:UNUSED_PAD src0_sel:DWORD src1_sel:WORD_1
	ds_read_u16 v107, v12 offset:4104
	v_fma_f16 v71, v91, v71, -v74
	ds_read_u16 v74, v20
	ds_read_u16 v85, v12 offset:5400
	ds_read_u16 v88, v12 offset:5616
	;; [unrolled: 1-line block ×5, first 2 shown]
	ds_read_u16 v100, v16
	ds_read_u16 v101, v15
	s_waitcnt lgkmcnt(6)
	v_mul_f16_sdwa v102, v85, v72 dst_sel:DWORD dst_unused:UNUSED_PAD src0_sel:DWORD src1_sel:WORD_1
	v_fma_f16 v102, v56, v72, v102
	v_mul_f16_sdwa v56, v56, v72 dst_sel:DWORD dst_unused:UNUSED_PAD src0_sel:DWORD src1_sel:WORD_1
	v_fma_f16 v72, v85, v72, -v56
	s_waitcnt vmcnt(3)
	v_mul_f16_sdwa v56, v92, v76 dst_sel:DWORD dst_unused:UNUSED_PAD src0_sel:DWORD src1_sel:WORD_1
	v_fma_f16 v85, v55, v76, v56
	ds_read_u16 v56, v12 offset:3672
	v_mul_f16_sdwa v55, v55, v76 dst_sel:DWORD dst_unused:UNUSED_PAD src0_sel:DWORD src1_sel:WORD_1
	v_fma_f16 v76, v92, v76, -v55
	s_waitcnt lgkmcnt(6)
	v_mul_f16_sdwa v55, v88, v77 dst_sel:DWORD dst_unused:UNUSED_PAD src0_sel:DWORD src1_sel:WORD_1
	v_fma_f16 v92, v54, v77, v55
	v_mul_f16_sdwa v54, v54, v77 dst_sel:DWORD dst_unused:UNUSED_PAD src0_sel:DWORD src1_sel:WORD_1
	v_fma_f16 v77, v88, v77, -v54
	ds_read_u16 v54, v12 offset:3888
	v_sub_f16_e32 v110, v76, v77
	ds_read_u16 v118, v21
	ds_read_u16 v119, v22
	;; [unrolled: 1-line block ×6, first 2 shown]
	s_waitcnt vmcnt(0) lgkmcnt(0)
	s_barrier
	s_mov_b32 s0, 0xe38f
	v_mul_f16_sdwa v55, v56, v82 dst_sel:DWORD dst_unused:UNUSED_PAD src0_sel:DWORD src1_sel:WORD_1
	v_fma_f16 v88, v52, v82, v55
	v_mul_f16_sdwa v52, v52, v82 dst_sel:DWORD dst_unused:UNUSED_PAD src0_sel:DWORD src1_sel:WORD_1
	v_fma_f16 v82, v56, v82, -v52
	v_mul_f16_sdwa v52, v90, v83 dst_sel:DWORD dst_unused:UNUSED_PAD src0_sel:DWORD src1_sel:WORD_1
	v_fma_f16 v103, v53, v83, v52
	v_mul_f16_sdwa v52, v53, v83 dst_sel:DWORD dst_unused:UNUSED_PAD src0_sel:DWORD src1_sel:WORD_1
	v_fma_f16 v83, v90, v83, -v52
	;; [unrolled: 4-line block ×6, first 2 shown]
	v_add_f16_e32 v48, v23, v108
	v_fma_f16 v48, v48, -0.5, v47
	v_sub_f16_e32 v49, v60, v61
	v_fma_f16 v50, v49, s6, v48
	v_fma_f16 v48, v49, s7, v48
	v_add_f16_e32 v49, v94, v60
	v_add_f16_e32 v93, v49, v61
	;; [unrolled: 1-line block ×3, first 2 shown]
	v_fma_f16 v49, v49, -0.5, v94
	v_add_f16_e32 v47, v47, v23
	v_sub_f16_e32 v23, v23, v108
	v_fma_f16 v60, v23, s7, v49
	v_fma_f16 v61, v23, s6, v49
	v_add_f16_e32 v23, v97, v78
	v_fma_f16 v23, v23, -0.5, v43
	v_sub_f16_e32 v49, v62, v63
	v_fma_f16 v51, v49, s6, v23
	v_fma_f16 v49, v49, s7, v23
	v_add_f16_e32 v23, v89, v84
	v_fma_f16 v23, v23, -0.5, v40
	;; [unrolled: 5-line block ×4, first 2 shown]
	v_sub_f16_e32 v56, v68, v69
	v_fma_f16 v94, v56, s6, v23
	v_fma_f16 v56, v56, s7, v23
	v_add_f16_e32 v23, v70, v102
	v_add_f16_e32 v47, v47, v108
	v_fma_f16 v23, v23, -0.5, v36
	v_sub_f16_e32 v108, v71, v72
	v_fma_f16 v109, v108, s6, v23
	v_fma_f16 v108, v108, s7, v23
	v_add_f16_e32 v23, v85, v92
	v_fma_f16 v23, v23, -0.5, v35
	v_fma_f16 v111, v110, s6, v23
	v_fma_f16 v110, v110, s7, v23
	v_add_f16_e32 v23, v88, v103
	v_fma_f16 v23, v23, -0.5, v34
	v_sub_f16_e32 v112, v82, v83
	v_fma_f16 v113, v112, s6, v23
	v_fma_f16 v112, v112, s7, v23
	v_add_f16_e32 v23, v90, v104
	v_fma_f16 v23, v23, -0.5, v33
	v_sub_f16_e32 v114, v86, v87
	;; [unrolled: 5-line block ×3, first 2 shown]
	v_fma_f16 v117, v116, s6, v23
	v_fma_f16 v116, v116, s7, v23
	v_mov_b32_e32 v23, 1
	v_lshlrev_b32_sdwa v31, v23, v31 dst_sel:DWORD dst_unused:UNUSED_PAD src0_sel:DWORD src1_sel:BYTE_0
	v_add3_u32 v31, 0, v29, v31
	v_lshlrev_b32_sdwa v29, v23, v41 dst_sel:DWORD dst_unused:UNUSED_PAD src0_sel:DWORD src1_sel:BYTE_0
	v_add3_u32 v124, 0, v30, v29
	v_add_f16_e32 v29, v43, v97
	v_add_f16_e32 v29, v29, v78
	ds_write_b16 v31, v47
	ds_write_b16 v31, v50 offset:6
	ds_write_b16 v31, v48 offset:12
	ds_write_b16 v124, v29
	ds_write_b16 v124, v51 offset:6
	ds_write_b16 v124, v49 offset:12
	v_lshlrev_b32_e32 v29, 1, v46
	v_mul_u32_u24_e32 v30, 18, v44
	v_add3_u32 v125, 0, v30, v29
	v_add_f16_e32 v29, v40, v89
	v_add_f16_e32 v29, v29, v84
	ds_write_b16 v125, v29
	ds_write_b16 v125, v53 offset:6
	ds_write_b16 v125, v52 offset:12
	v_lshlrev_b32_e32 v29, 1, v45
	v_mul_u32_u24_e32 v30, 18, v42
	v_add_f16_e32 v5, v5, v80
	v_add3_u32 v126, 0, v30, v29
	v_add_f16_e32 v5, v5, v81
	ds_write_b16 v126, v5
	ds_write_b16 v126, v55 offset:6
	ds_write_b16 v126, v54 offset:12
	v_lshlrev_b32_e32 v5, 1, v59
	v_mul_u32_u24_e32 v29, 18, v58
	v_add3_u32 v58, 0, v29, v5
	v_add_f16_e32 v5, v38, v75
	v_add_f16_e32 v5, v5, v79
	ds_write_b16 v58, v5
	ds_write_b16 v58, v94 offset:6
	ds_write_b16 v58, v56 offset:12
	v_lshlrev_b32_e32 v5, 1, v26
	v_mul_u32_u24_e32 v26, 18, v57
	v_add3_u32 v26, 0, v26, v5
	v_add_f16_e32 v5, v36, v70
	v_add_f16_e32 v5, v5, v102
	ds_write_b16 v26, v5
	ds_write_b16 v26, v109 offset:6
	ds_write_b16 v26, v108 offset:12
	v_lshlrev_b32_e32 v5, 1, v96
	v_mul_u32_u24_e32 v29, 18, v95
	v_add3_u32 v94, 0, v29, v5
	v_add_f16_e32 v5, v35, v85
	v_add_f16_e32 v5, v5, v92
	ds_write_b16 v94, v5
	ds_write_b16 v94, v111 offset:6
	ds_write_b16 v94, v110 offset:12
	v_lshlrev_b32_e32 v5, 1, v25
	v_mul_u32_u24_e32 v25, 18, v73
	v_add3_u32 v25, 0, v25, v5
	v_add_f16_e32 v5, v34, v88
	v_add_f16_e32 v5, v5, v103
	ds_write_b16 v25, v5
	ds_write_b16 v25, v113 offset:6
	ds_write_b16 v25, v112 offset:12
	v_lshlrev_b32_e32 v5, 1, v99
	v_mul_u32_u24_e32 v29, 18, v98
	v_add3_u32 v73, 0, v29, v5
	v_add_f16_e32 v5, v33, v90
	v_add_f16_e32 v5, v5, v104
	ds_write_b16 v73, v5
	ds_write_b16 v73, v115 offset:6
	ds_write_b16 v73, v114 offset:12
	v_lshlrev_b32_e32 v5, 1, v106
	v_mul_u32_u24_e32 v29, 18, v105
	v_add3_u32 v95, 0, v29, v5
	v_add_f16_e32 v5, v32, v91
	v_add_f16_e32 v5, v5, v107
	ds_write_b16 v95, v5
	ds_write_b16 v95, v117 offset:6
	ds_write_b16 v95, v116 offset:12
	s_waitcnt lgkmcnt(0)
	s_barrier
	ds_read_u16 v55, v24
	ds_read_u16 v30, v12
	ds_read_u16 v45, v12 offset:864
	ds_read_u16 v44, v12 offset:2808
	;; [unrolled: 1-line block ×23, first 2 shown]
	ds_read_u16 v59, v6
	ds_read_u16 v56, v20
	;; [unrolled: 1-line block ×4, first 2 shown]
	ds_read_u16 v32, v12 offset:6264
	s_waitcnt lgkmcnt(0)
	s_barrier
	ds_write_b16 v31, v93
	ds_write_b16 v31, v60 offset:6
	ds_write_b16 v31, v61 offset:12
	v_add_f16_e32 v60, v62, v63
	v_add_f16_e32 v31, v101, v62
	v_fma_f16 v60, v60, -0.5, v101
	v_sub_f16_e32 v61, v97, v78
	v_add_f16_e32 v31, v31, v63
	v_fma_f16 v62, v61, s7, v60
	v_fma_f16 v60, v61, s6, v60
	ds_write_b16 v124, v31
	ds_write_b16 v124, v62 offset:6
	ds_write_b16 v124, v60 offset:12
	v_add_f16_e32 v60, v64, v65
	v_add_f16_e32 v63, v66, v67
	;; [unrolled: 1-line block ×3, first 2 shown]
	v_fma_f16 v60, v60, -0.5, v100
	v_sub_f16_e32 v61, v89, v84
	v_fma_f16 v63, v63, -0.5, v74
	v_sub_f16_e32 v64, v80, v81
	v_add_f16_e32 v31, v31, v65
	v_fma_f16 v62, v61, s7, v60
	v_fma_f16 v60, v61, s6, v60
	v_add_f16_e32 v61, v74, v66
	v_fma_f16 v65, v64, s7, v63
	v_fma_f16 v63, v64, s6, v63
	v_add_f16_e32 v64, v118, v68
	v_add_f16_e32 v66, v68, v69
	;; [unrolled: 1-line block ×4, first 2 shown]
	v_fma_f16 v66, v66, -0.5, v118
	v_sub_f16_e32 v67, v75, v79
	v_add_f16_e32 v69, v71, v72
	v_add_f16_e32 v79, v86, v87
	v_fma_f16 v68, v67, s7, v66
	v_fma_f16 v66, v67, s6, v66
	v_add_f16_e32 v67, v119, v71
	v_fma_f16 v69, v69, -0.5, v119
	v_sub_f16_e32 v70, v70, v102
	v_fma_f16 v79, v79, -0.5, v120
	v_sub_f16_e32 v80, v90, v104
	v_add_f16_e32 v67, v67, v72
	v_fma_f16 v71, v70, s7, v69
	v_fma_f16 v69, v70, s6, v69
	v_add_f16_e32 v70, v123, v76
	v_add_f16_e32 v72, v76, v77
	v_add_f16_e32 v76, v82, v83
	v_fma_f16 v81, v80, s7, v79
	v_fma_f16 v79, v80, s6, v79
	v_add_f16_e32 v80, v121, v27
	v_add_f16_e32 v27, v27, v28
	;; [unrolled: 1-line block ×3, first 2 shown]
	v_fma_f16 v72, v72, -0.5, v123
	v_sub_f16_e32 v74, v85, v92
	v_fma_f16 v76, v76, -0.5, v122
	v_sub_f16_e32 v77, v88, v103
	v_add_f16_e32 v80, v80, v28
	v_fma_f16 v27, v27, -0.5, v121
	v_sub_f16_e32 v28, v91, v107
	v_fma_f16 v75, v74, s7, v72
	v_fma_f16 v72, v74, s6, v72
	v_add_f16_e32 v74, v122, v82
	v_fma_f16 v78, v77, s7, v76
	v_fma_f16 v76, v77, s6, v76
	v_add_f16_e32 v77, v120, v86
	;; [unrolled: 3-line block ×3, first 2 shown]
	v_add_f16_e32 v77, v77, v87
	ds_write_b16 v125, v31
	ds_write_b16 v125, v62 offset:6
	ds_write_b16 v125, v60 offset:12
	ds_write_b16 v126, v61
	ds_write_b16 v126, v65 offset:6
	ds_write_b16 v126, v63 offset:12
	ds_write_b16 v58, v64
	ds_write_b16 v58, v68 offset:6
	ds_write_b16 v58, v66 offset:12
	ds_write_b16 v26, v67
	ds_write_b16 v26, v71 offset:6
	ds_write_b16 v26, v69 offset:12
	ds_write_b16 v94, v70
	ds_write_b16 v94, v75 offset:6
	ds_write_b16 v94, v72 offset:12
	ds_write_b16 v25, v74
	ds_write_b16 v25, v78 offset:6
	ds_write_b16 v25, v76 offset:12
	ds_write_b16 v73, v77
	ds_write_b16 v73, v81 offset:6
	ds_write_b16 v73, v79 offset:12
	ds_write_b16 v95, v80
	ds_write_b16 v95, v82 offset:6
	ds_write_b16 v95, v27 offset:12
	v_mov_b32_e32 v27, 57
	v_mul_lo_u16_sdwa v25, v7, v27 dst_sel:DWORD dst_unused:UNUSED_PAD src0_sel:BYTE_0 src1_sel:DWORD
	v_lshrrev_b16_e32 v25, 9, v25
	v_mul_lo_u16_e32 v26, 9, v25
	v_sub_u16_e32 v26, v7, v26
	v_mov_b32_e32 v31, 9
	v_mul_u32_u24_sdwa v28, v26, v31 dst_sel:DWORD dst_unused:UNUSED_PAD src0_sel:BYTE_0 src1_sel:DWORD
	v_lshlrev_b32_e32 v60, 2, v28
	s_waitcnt lgkmcnt(0)
	s_barrier
	global_load_dwordx4 v[62:65], v60, s[12:13] offset:24
	global_load_dwordx4 v[66:69], v60, s[12:13] offset:40
	v_mul_lo_u16_sdwa v27, v8, v27 dst_sel:DWORD dst_unused:UNUSED_PAD src0_sel:BYTE_0 src1_sel:DWORD
	v_lshrrev_b16_e32 v27, 9, v27
	v_mul_lo_u16_e32 v28, 9, v27
	v_sub_u16_e32 v28, v8, v28
	v_mul_u32_u24_sdwa v31, v28, v31 dst_sel:DWORD dst_unused:UNUSED_PAD src0_sel:BYTE_0 src1_sel:DWORD
	v_lshlrev_b32_e32 v58, 2, v31
	global_load_dwordx4 v[70:73], v58, s[12:13] offset:24
	ds_read_u16 v61, v24
	ds_read_u16 v86, v12 offset:4536
	ds_read_u16 v87, v12 offset:4752
	ds_read_u16 v82, v6
	ds_read_u16 v83, v20
	;; [unrolled: 1-line block ×3, first 2 shown]
	ds_read_u16 v88, v12 offset:2592
	ds_read_u16 v89, v12 offset:2376
	v_mul_u32_u24_sdwa v6, v9, s0 dst_sel:DWORD dst_unused:UNUSED_PAD src0_sel:WORD_0 src1_sel:DWORD
	v_lshrrev_b32_e32 v6, 19, v6
	v_mul_lo_u16_e32 v24, 9, v6
	v_sub_u16_e32 v24, v9, v24
	global_load_dword v90, v58, s[12:13] offset:56
	global_load_dwordx4 v[74:77], v58, s[12:13] offset:40
	v_mul_u32_u24_e32 v58, 9, v24
	v_lshlrev_b32_e32 v99, 2, v58
	ds_read_u16 v91, v12 offset:4320
	ds_read_u16 v92, v12 offset:4104
	;; [unrolled: 1-line block ×8, first 2 shown]
	global_load_dwordx4 v[78:81], v99, s[12:13] offset:24
	s_movk_i32 s0, 0x38b4
	v_mul_u32_u24_e32 v25, 0xb4, v25
	v_lshlrev_b32_sdwa v26, v23, v26 dst_sel:DWORD dst_unused:UNUSED_PAD src0_sel:DWORD src1_sel:BYTE_0
	v_add3_u32 v26, 0, v25, v26
	v_mul_u32_u24_e32 v25, 0xb4, v27
	v_lshlrev_b32_sdwa v27, v23, v28 dst_sel:DWORD dst_unused:UNUSED_PAD src0_sel:DWORD src1_sel:BYTE_0
	v_mul_u32_u24_e32 v6, 0xb4, v6
	v_lshlrev_b32_e32 v24, 1, v24
	v_add3_u32 v28, 0, v25, v27
	v_add3_u32 v6, 0, v6, v24
	s_waitcnt vmcnt(5) lgkmcnt(11)
	v_mul_f16_sdwa v58, v83, v62 dst_sel:DWORD dst_unused:UNUSED_PAD src0_sel:DWORD src1_sel:WORD_1
	v_fma_f16 v58, v56, v62, v58
	v_mul_f16_sdwa v56, v56, v62 dst_sel:DWORD dst_unused:UNUSED_PAD src0_sel:DWORD src1_sel:WORD_1
	v_fma_f16 v56, v83, v62, -v56
	v_mul_f16_sdwa v62, v82, v63 dst_sel:DWORD dst_unused:UNUSED_PAD src0_sel:DWORD src1_sel:WORD_1
	v_fma_f16 v100, v59, v63, v62
	v_mul_f16_sdwa v59, v59, v63 dst_sel:DWORD dst_unused:UNUSED_PAD src0_sel:DWORD src1_sel:WORD_1
	v_fma_f16 v63, v82, v63, -v59
	global_load_dwordx4 v[82:85], v99, s[12:13] offset:40
	v_mul_f16_sdwa v59, v61, v64 dst_sel:DWORD dst_unused:UNUSED_PAD src0_sel:DWORD src1_sel:WORD_1
	v_fma_f16 v59, v55, v64, v59
	v_mul_f16_sdwa v55, v55, v64 dst_sel:DWORD dst_unused:UNUSED_PAD src0_sel:DWORD src1_sel:WORD_1
	v_fma_f16 v55, v61, v64, -v55
	s_waitcnt lgkmcnt(9)
	v_mul_f16_sdwa v61, v88, v65 dst_sel:DWORD dst_unused:UNUSED_PAD src0_sel:DWORD src1_sel:WORD_1
	v_fma_f16 v101, v57, v65, v61
	s_waitcnt vmcnt(5) lgkmcnt(2)
	v_mul_f16_sdwa v61, v96, v66 dst_sel:DWORD dst_unused:UNUSED_PAD src0_sel:DWORD src1_sel:WORD_1
	v_mul_f16_sdwa v57, v57, v65 dst_sel:DWORD dst_unused:UNUSED_PAD src0_sel:DWORD src1_sel:WORD_1
	v_fma_f16 v104, v54, v66, v61
	v_mul_f16_sdwa v54, v54, v66 dst_sel:DWORD dst_unused:UNUSED_PAD src0_sel:DWORD src1_sel:WORD_1
	v_fma_f16 v64, v88, v65, -v57
	ds_read_u16 v65, v12 offset:6048
	ds_read_u16 v88, v12 offset:5832
	;; [unrolled: 1-line block ×5, first 2 shown]
	v_fma_f16 v96, v96, v66, -v54
	v_mul_f16_sdwa v54, v93, v67 dst_sel:DWORD dst_unused:UNUSED_PAD src0_sel:DWORD src1_sel:WORD_1
	v_fma_f16 v105, v52, v67, v54
	v_mul_f16_sdwa v52, v52, v67 dst_sel:DWORD dst_unused:UNUSED_PAD src0_sel:DWORD src1_sel:WORD_1
	v_fma_f16 v67, v93, v67, -v52
	v_mul_f16_sdwa v52, v86, v68 dst_sel:DWORD dst_unused:UNUSED_PAD src0_sel:DWORD src1_sel:WORD_1
	global_load_dword v66, v60, s[12:13] offset:56
	v_fma_f16 v93, v51, v68, v52
	v_mul_f16_sdwa v51, v51, v68 dst_sel:DWORD dst_unused:UNUSED_PAD src0_sel:DWORD src1_sel:WORD_1
	v_fma_f16 v68, v86, v68, -v51
	s_waitcnt lgkmcnt(1)
	v_mul_f16_sdwa v51, v57, v69 dst_sel:DWORD dst_unused:UNUSED_PAD src0_sel:DWORD src1_sel:WORD_1
	v_fma_f16 v86, v53, v69, v51
	v_mul_f16_sdwa v51, v53, v69 dst_sel:DWORD dst_unused:UNUSED_PAD src0_sel:DWORD src1_sel:WORD_1
	v_fma_f16 v69, v57, v69, -v51
	ds_read_u16 v51, v12 offset:864
	ds_read_u16 v106, v12 offset:1080
	global_load_dword v99, v99, s[12:13] offset:56
	ds_read_u16 v52, v12 offset:2160
	ds_read_u16 v107, v12 offset:1728
	;; [unrolled: 1-line block ×3, first 2 shown]
	ds_read_u16 v108, v12
	s_waitcnt vmcnt(6) lgkmcnt(5)
	v_mul_f16_sdwa v54, v51, v70 dst_sel:DWORD dst_unused:UNUSED_PAD src0_sel:DWORD src1_sel:WORD_1
	v_fma_f16 v60, v45, v70, v54
	v_mul_f16_sdwa v45, v45, v70 dst_sel:DWORD dst_unused:UNUSED_PAD src0_sel:DWORD src1_sel:WORD_1
	v_fma_f16 v51, v51, v70, -v45
	s_waitcnt lgkmcnt(1)
	v_mul_f16_sdwa v45, v53, v71 dst_sel:DWORD dst_unused:UNUSED_PAD src0_sel:DWORD src1_sel:WORD_1
	v_fma_f16 v70, v50, v71, v45
	v_mul_f16_sdwa v45, v50, v71 dst_sel:DWORD dst_unused:UNUSED_PAD src0_sel:DWORD src1_sel:WORD_1
	v_fma_f16 v71, v53, v71, -v45
	ds_read_u16 v45, v12 offset:2808
	v_mul_f16_sdwa v50, v52, v72 dst_sel:DWORD dst_unused:UNUSED_PAD src0_sel:DWORD src1_sel:WORD_1
	v_fma_f16 v57, v48, v72, v50
	v_mul_f16_sdwa v48, v48, v72 dst_sel:DWORD dst_unused:UNUSED_PAD src0_sel:DWORD src1_sel:WORD_1
	v_fma_f16 v52, v52, v72, -v48
	s_waitcnt lgkmcnt(0)
	v_mul_f16_sdwa v48, v45, v73 dst_sel:DWORD dst_unused:UNUSED_PAD src0_sel:DWORD src1_sel:WORD_1
	v_fma_f16 v72, v44, v73, v48
	v_mul_f16_sdwa v44, v44, v73 dst_sel:DWORD dst_unused:UNUSED_PAD src0_sel:DWORD src1_sel:WORD_1
	v_fma_f16 v73, v45, v73, -v44
	s_waitcnt vmcnt(4)
	v_mul_f16_sdwa v44, v95, v74 dst_sel:DWORD dst_unused:UNUSED_PAD src0_sel:DWORD src1_sel:WORD_1
	v_fma_f16 v61, v49, v74, v44
	v_mul_f16_sdwa v44, v49, v74 dst_sel:DWORD dst_unused:UNUSED_PAD src0_sel:DWORD src1_sel:WORD_1
	v_fma_f16 v53, v95, v74, -v44
	v_mul_f16_sdwa v44, v92, v75 dst_sel:DWORD dst_unused:UNUSED_PAD src0_sel:DWORD src1_sel:WORD_1
	v_fma_f16 v74, v46, v75, v44
	v_mul_f16_sdwa v44, v46, v75 dst_sel:DWORD dst_unused:UNUSED_PAD src0_sel:DWORD src1_sel:WORD_1
	v_fma_f16 v75, v92, v75, -v44
	;; [unrolled: 4-line block ×4, first 2 shown]
	s_waitcnt vmcnt(3)
	v_mul_f16_sdwa v41, v106, v78 dst_sel:DWORD dst_unused:UNUSED_PAD src0_sel:DWORD src1_sel:WORD_1
	v_fma_f16 v44, v43, v78, v41
	v_mul_f16_sdwa v41, v43, v78 dst_sel:DWORD dst_unused:UNUSED_PAD src0_sel:DWORD src1_sel:WORD_1
	v_mul_f16_sdwa v43, v107, v79 dst_sel:DWORD dst_unused:UNUSED_PAD src0_sel:DWORD src1_sel:WORD_1
	v_fma_f16 v48, v40, v79, v43
	v_mul_f16_sdwa v40, v40, v79 dst_sel:DWORD dst_unused:UNUSED_PAD src0_sel:DWORD src1_sel:WORD_1
	v_fma_f16 v45, v107, v79, -v40
	ds_read_u16 v79, v12 offset:6264
	v_fma_f16 v41, v106, v78, -v41
	v_mul_f16_sdwa v40, v89, v80 dst_sel:DWORD dst_unused:UNUSED_PAD src0_sel:DWORD src1_sel:WORD_1
	v_mul_f16_sdwa v43, v97, v81 dst_sel:DWORD dst_unused:UNUSED_PAD src0_sel:DWORD src1_sel:WORD_1
	v_fma_f16 v40, v37, v80, v40
	v_mul_f16_sdwa v37, v37, v80 dst_sel:DWORD dst_unused:UNUSED_PAD src0_sel:DWORD src1_sel:WORD_1
	v_fma_f16 v49, v42, v81, v43
	v_mul_f16_sdwa v42, v42, v81 dst_sel:DWORD dst_unused:UNUSED_PAD src0_sel:DWORD src1_sel:WORD_1
	v_fma_f16 v37, v89, v80, -v37
	v_fma_f16 v46, v97, v81, -v42
	ds_read_u16 v81, v15
	s_waitcnt vmcnt(2)
	v_mul_f16_sdwa v42, v94, v82 dst_sel:DWORD dst_unused:UNUSED_PAD src0_sel:DWORD src1_sel:WORD_1
	v_fma_f16 v42, v38, v82, v42
	v_mul_f16_sdwa v38, v38, v82 dst_sel:DWORD dst_unused:UNUSED_PAD src0_sel:DWORD src1_sel:WORD_1
	v_mul_f16_sdwa v43, v91, v83 dst_sel:DWORD dst_unused:UNUSED_PAD src0_sel:DWORD src1_sel:WORD_1
	v_fma_f16 v38, v94, v82, -v38
	v_fma_f16 v50, v35, v83, v43
	v_mul_f16_sdwa v35, v35, v83 dst_sel:DWORD dst_unused:UNUSED_PAD src0_sel:DWORD src1_sel:WORD_1
	v_fma_f16 v47, v91, v83, -v35
	v_mul_f16_sdwa v35, v103, v84 dst_sel:DWORD dst_unused:UNUSED_PAD src0_sel:DWORD src1_sel:WORD_1
	v_fma_f16 v43, v39, v84, v35
	v_mul_f16_sdwa v35, v39, v84 dst_sel:DWORD dst_unused:UNUSED_PAD src0_sel:DWORD src1_sel:WORD_1
	v_fma_f16 v35, v103, v84, -v35
	v_mul_f16_sdwa v39, v98, v85 dst_sel:DWORD dst_unused:UNUSED_PAD src0_sel:DWORD src1_sel:WORD_1
	v_sub_f16_e32 v84, v64, v67
	v_fma_f16 v39, v36, v85, v39
	v_mul_f16_sdwa v36, v36, v85 dst_sel:DWORD dst_unused:UNUSED_PAD src0_sel:DWORD src1_sel:WORD_1
	v_fma_f16 v36, v98, v85, -v36
	s_waitcnt vmcnt(1)
	v_mul_f16_sdwa v78, v88, v66 dst_sel:DWORD dst_unused:UNUSED_PAD src0_sel:DWORD src1_sel:WORD_1
	v_fma_f16 v78, v34, v66, v78
	v_mul_f16_sdwa v34, v34, v66 dst_sel:DWORD dst_unused:UNUSED_PAD src0_sel:DWORD src1_sel:WORD_1
	v_fma_f16 v34, v88, v66, -v34
	v_mul_f16_sdwa v66, v65, v90 dst_sel:DWORD dst_unused:UNUSED_PAD src0_sel:DWORD src1_sel:WORD_1
	v_fma_f16 v80, v33, v90, v66
	v_mul_f16_sdwa v33, v33, v90 dst_sel:DWORD dst_unused:UNUSED_PAD src0_sel:DWORD src1_sel:WORD_1
	v_fma_f16 v66, v65, v90, -v33
	v_sub_f16_e32 v65, v86, v105
	s_waitcnt vmcnt(0) lgkmcnt(1)
	v_mul_f16_sdwa v33, v79, v99 dst_sel:DWORD dst_unused:UNUSED_PAD src0_sel:DWORD src1_sel:WORD_1
	v_fma_f16 v82, v32, v99, v33
	v_sub_f16_e32 v33, v100, v101
	v_mul_f16_sdwa v32, v32, v99 dst_sel:DWORD dst_unused:UNUSED_PAD src0_sel:DWORD src1_sel:WORD_1
	v_add_f16_e32 v33, v33, v65
	v_add_f16_e32 v65, v101, v105
	v_fma_f16 v32, v79, v99, -v32
	v_fma_f16 v65, v65, -0.5, v30
	v_sub_f16_e32 v79, v63, v69
	v_fma_f16 v83, v79, s14, v65
	v_fma_f16 v65, v79, s1, v65
	v_fma_f16 v83, v84, s9, v83
	v_fma_f16 v65, v84, s0, v65
	v_fma_f16 v83, v33, s8, v83
	v_fma_f16 v33, v33, s8, v65
	v_sub_f16_e32 v65, v101, v100
	v_sub_f16_e32 v85, v105, v86
	v_add_f16_e32 v65, v65, v85
	v_add_f16_e32 v85, v100, v86
	v_fma_f16 v85, v85, -0.5, v30
	v_add_f16_e32 v30, v30, v100
	v_fma_f16 v87, v84, s1, v85
	v_fma_f16 v84, v84, s14, v85
	v_add_f16_e32 v30, v30, v101
	v_fma_f16 v85, v79, s9, v87
	v_fma_f16 v79, v79, s0, v84
	v_add_f16_e32 v30, v30, v105
	v_fma_f16 v84, v65, s8, v85
	v_fma_f16 v65, v65, s8, v79
	v_add_f16_e32 v30, v30, v86
	v_sub_f16_e32 v79, v100, v86
	v_sub_f16_e32 v86, v63, v64
	;; [unrolled: 1-line block ×3, first 2 shown]
	v_add_f16_e32 v86, v86, v87
	v_add_f16_e32 v87, v64, v67
	v_fma_f16 v87, v87, -0.5, v108
	v_sub_f16_e32 v85, v101, v105
	v_fma_f16 v88, v79, s1, v87
	v_fma_f16 v87, v79, s14, v87
	;; [unrolled: 1-line block ×4, first 2 shown]
	v_add_f16_e32 v89, v108, v63
	v_fma_f16 v88, v86, s8, v88
	v_fma_f16 v86, v86, s8, v87
	v_add_f16_e32 v87, v63, v69
	v_add_f16_e32 v89, v89, v64
	v_fma_f16 v87, v87, -0.5, v108
	v_sub_f16_e32 v63, v64, v63
	v_add_f16_e32 v64, v89, v67
	v_sub_f16_e32 v67, v67, v69
	v_add_f16_e32 v64, v64, v69
	v_add_f16_e32 v63, v63, v67
	v_fma_f16 v67, v85, s14, v87
	v_fma_f16 v69, v85, s1, v87
	;; [unrolled: 1-line block ×6, first 2 shown]
	v_sub_f16_e32 v63, v59, v104
	v_sub_f16_e32 v79, v78, v93
	v_add_f16_e32 v63, v63, v79
	v_add_f16_e32 v79, v104, v93
	v_fma_f16 v79, v79, -0.5, v58
	v_sub_f16_e32 v85, v55, v34
	v_fma_f16 v87, v85, s14, v79
	v_sub_f16_e32 v89, v96, v68
	v_fma_f16 v79, v85, s1, v79
	v_fma_f16 v87, v89, s9, v87
	;; [unrolled: 1-line block ×5, first 2 shown]
	v_sub_f16_e32 v79, v104, v59
	v_sub_f16_e32 v90, v93, v78
	v_add_f16_e32 v79, v79, v90
	v_add_f16_e32 v90, v59, v78
	v_fma_f16 v90, v90, -0.5, v58
	v_fma_f16 v91, v89, s1, v90
	v_fma_f16 v89, v89, s14, v90
	;; [unrolled: 1-line block ×6, first 2 shown]
	v_add_f16_e32 v58, v58, v59
	v_sub_f16_e32 v85, v55, v96
	v_sub_f16_e32 v90, v34, v68
	v_add_f16_e32 v58, v58, v104
	v_add_f16_e32 v85, v85, v90
	;; [unrolled: 1-line block ×4, first 2 shown]
	v_sub_f16_e32 v59, v59, v78
	v_fma_f16 v90, v90, -0.5, v56
	v_add_f16_e32 v58, v58, v78
	v_sub_f16_e32 v78, v104, v93
	v_fma_f16 v91, v59, s1, v90
	v_fma_f16 v90, v59, s14, v90
	;; [unrolled: 1-line block ×6, first 2 shown]
	v_add_f16_e32 v90, v55, v34
	v_fma_f16 v90, v90, -0.5, v56
	v_add_f16_e32 v56, v56, v55
	v_add_f16_e32 v56, v56, v96
	;; [unrolled: 1-line block ×3, first 2 shown]
	v_sub_f16_e32 v55, v96, v55
	v_add_f16_e32 v92, v56, v34
	v_sub_f16_e32 v34, v68, v34
	v_add_f16_e32 v34, v55, v34
	v_fma_f16 v55, v78, s14, v90
	v_fma_f16 v56, v78, s1, v90
	;; [unrolled: 1-line block ×6, first 2 shown]
	v_mul_f16_e32 v59, 0x3a79, v91
	v_mul_f16_e32 v78, 0xbb9c, v34
	;; [unrolled: 1-line block ×3, first 2 shown]
	v_fma_f16 v68, v87, s0, v59
	v_mul_f16_e32 v59, 0xbb9c, v55
	v_mul_f16_e32 v55, 0x34f2, v55
	v_fma_f16 v78, v79, s15, v78
	v_fma_f16 v79, v79, s1, v34
	v_mul_f16_e32 v34, 0xb8b4, v85
	v_fma_f16 v59, v89, s8, v59
	v_fma_f16 v55, v89, s1, v55
	;; [unrolled: 1-line block ×3, first 2 shown]
	v_mul_f16_e32 v85, 0xba79, v85
	v_mul_f16_e32 v56, 0xb8b4, v91
	v_fma_f16 v85, v63, s0, v85
	v_add_f16_e32 v91, v84, v59
	v_sub_f16_e32 v84, v84, v59
	v_add_f16_e32 v94, v33, v34
	v_sub_f16_e32 v95, v33, v34
	;; [unrolled: 2-line block ×4, first 2 shown]
	v_sub_f16_e32 v67, v70, v72
	v_sub_f16_e32 v68, v76, v74
	v_fma_f16 v56, v87, s17, v56
	v_add_f16_e32 v67, v67, v68
	v_add_f16_e32 v68, v72, v74
	;; [unrolled: 1-line block ×3, first 2 shown]
	v_sub_f16_e32 v89, v30, v58
	v_add_f16_e32 v90, v83, v56
	v_sub_f16_e32 v83, v83, v56
	v_add_f16_e32 v56, v64, v92
	;; [unrolled: 2-line block ×3, first 2 shown]
	v_sub_f16_e32 v55, v69, v79
	v_fma_f16 v68, v68, -0.5, v29
	v_sub_f16_e32 v69, v71, v77
	v_add_f16_e32 v93, v65, v78
	v_sub_f16_e32 v78, v65, v78
	v_add_f16_e32 v65, v86, v85
	v_sub_f16_e32 v58, v86, v85
	v_fma_f16 v79, v69, s14, v68
	v_sub_f16_e32 v85, v73, v75
	v_fma_f16 v68, v69, s1, v68
	v_fma_f16 v79, v85, s9, v79
	;; [unrolled: 1-line block ×5, first 2 shown]
	v_sub_f16_e32 v68, v72, v70
	v_sub_f16_e32 v86, v74, v76
	v_add_f16_e32 v68, v68, v86
	v_add_f16_e32 v86, v70, v76
	v_fma_f16 v86, v86, -0.5, v29
	v_fma_f16 v88, v85, s1, v86
	v_fma_f16 v85, v85, s14, v86
	v_add_f16_e32 v29, v29, v70
	v_fma_f16 v86, v69, s9, v88
	v_fma_f16 v69, v69, s0, v85
	v_add_f16_e32 v29, v29, v72
	;; [unrolled: 3-line block ×3, first 2 shown]
	v_sub_f16_e32 v69, v70, v76
	v_sub_f16_e32 v70, v72, v74
	;; [unrolled: 1-line block ×4, first 2 shown]
	v_add_f16_e32 v72, v72, v74
	v_add_f16_e32 v74, v73, v75
	s_waitcnt lgkmcnt(0)
	v_fma_f16 v74, v74, -0.5, v81
	v_add_f16_e32 v29, v29, v76
	v_fma_f16 v76, v69, s1, v74
	v_fma_f16 v74, v69, s14, v74
	;; [unrolled: 1-line block ×6, first 2 shown]
	v_add_f16_e32 v74, v71, v77
	v_fma_f16 v74, v74, -0.5, v81
	v_add_f16_e32 v81, v81, v71
	v_add_f16_e32 v81, v81, v73
	v_sub_f16_e32 v71, v73, v71
	v_add_f16_e32 v73, v81, v75
	v_sub_f16_e32 v75, v75, v77
	v_add_f16_e32 v71, v71, v75
	v_fma_f16 v75, v70, s14, v74
	v_fma_f16 v70, v70, s1, v74
	;; [unrolled: 1-line block ×6, first 2 shown]
	v_sub_f16_e32 v71, v57, v61
	v_sub_f16_e32 v74, v80, v62
	v_add_f16_e32 v71, v71, v74
	v_add_f16_e32 v74, v61, v62
	v_fma_f16 v74, v74, -0.5, v60
	v_sub_f16_e32 v75, v52, v66
	v_add_f16_e32 v73, v73, v77
	v_fma_f16 v77, v75, s14, v74
	v_sub_f16_e32 v81, v53, v54
	v_fma_f16 v74, v75, s1, v74
	v_fma_f16 v77, v81, s9, v77
	;; [unrolled: 1-line block ×5, first 2 shown]
	v_sub_f16_e32 v74, v61, v57
	v_sub_f16_e32 v86, v62, v80
	v_add_f16_e32 v74, v74, v86
	v_add_f16_e32 v86, v57, v80
	v_fma_f16 v86, v86, -0.5, v60
	v_fma_f16 v88, v81, s1, v86
	v_fma_f16 v81, v81, s14, v86
	v_add_f16_e32 v60, v60, v57
	v_fma_f16 v86, v75, s9, v88
	v_fma_f16 v75, v75, s0, v81
	v_add_f16_e32 v60, v60, v61
	;; [unrolled: 3-line block ×3, first 2 shown]
	v_sub_f16_e32 v61, v61, v62
	v_sub_f16_e32 v62, v52, v53
	;; [unrolled: 1-line block ×3, first 2 shown]
	v_add_f16_e32 v62, v62, v75
	v_add_f16_e32 v75, v53, v54
	v_sub_f16_e32 v57, v57, v80
	v_fma_f16 v75, v75, -0.5, v51
	v_add_f16_e32 v60, v60, v80
	v_fma_f16 v80, v57, s1, v75
	v_fma_f16 v75, v57, s14, v75
	v_fma_f16 v80, v61, s0, v80
	v_fma_f16 v75, v61, s9, v75
	v_fma_f16 v80, v62, s8, v80
	v_fma_f16 v62, v62, s8, v75
	v_add_f16_e32 v75, v52, v66
	v_fma_f16 v75, v75, -0.5, v51
	v_add_f16_e32 v51, v51, v52
	v_add_f16_e32 v51, v51, v53
	v_sub_f16_e32 v52, v53, v52
	v_sub_f16_e32 v53, v54, v66
	v_add_f16_e32 v51, v51, v54
	v_add_f16_e32 v52, v52, v53
	v_fma_f16 v53, v61, s14, v75
	v_fma_f16 v54, v61, s1, v75
	;; [unrolled: 1-line block ×6, first 2 shown]
	v_add_f16_e32 v51, v51, v66
	v_mul_f16_e32 v66, 0xbb9c, v52
	v_mul_f16_e32 v52, 0xb4f2, v52
	;; [unrolled: 1-line block ×6, first 2 shown]
	v_fma_f16 v66, v74, s15, v66
	v_fma_f16 v52, v74, s1, v52
	v_mul_f16_e32 v74, 0xb8b4, v62
	v_mul_f16_e32 v62, 0xba79, v62
	v_fma_f16 v54, v77, s17, v54
	v_fma_f16 v57, v77, s0, v57
	;; [unrolled: 1-line block ×5, first 2 shown]
	v_add_f16_e32 v71, v29, v60
	v_sub_f16_e32 v29, v29, v60
	v_add_f16_e32 v60, v79, v54
	v_sub_f16_e32 v54, v79, v54
	;; [unrolled: 2-line block ×9, first 2 shown]
	v_sub_f16_e32 v72, v48, v49
	v_sub_f16_e32 v79, v39, v50
	v_add_f16_e32 v72, v72, v79
	v_add_f16_e32 v79, v49, v50
	v_fma_f16 v61, v81, s8, v61
	v_fma_f16 v79, v79, -0.5, v5
	v_sub_f16_e32 v80, v45, v36
	v_add_f16_e32 v75, v85, v61
	v_sub_f16_e32 v61, v85, v61
	v_fma_f16 v81, v80, s14, v79
	v_sub_f16_e32 v85, v46, v47
	v_fma_f16 v79, v80, s1, v79
	v_fma_f16 v81, v85, s9, v81
	;; [unrolled: 1-line block ×5, first 2 shown]
	v_sub_f16_e32 v79, v49, v48
	v_sub_f16_e32 v86, v50, v39
	v_add_f16_e32 v79, v79, v86
	v_add_f16_e32 v86, v48, v39
	v_fma_f16 v86, v86, -0.5, v5
	v_add_f16_e32 v5, v5, v48
	v_add_f16_e32 v5, v5, v49
	;; [unrolled: 1-line block ×4, first 2 shown]
	v_sub_f16_e32 v39, v48, v39
	v_sub_f16_e32 v48, v49, v50
	v_sub_f16_e32 v49, v45, v46
	v_sub_f16_e32 v50, v36, v47
	v_fma_f16 v88, v85, s1, v86
	v_fma_f16 v85, v85, s14, v86
	v_add_f16_e32 v49, v49, v50
	v_add_f16_e32 v50, v46, v47
	v_fma_f16 v86, v80, s9, v88
	v_fma_f16 v80, v80, s0, v85
	v_fma_f16 v50, v50, -0.5, v31
	v_fma_f16 v85, v79, s8, v86
	v_fma_f16 v79, v79, s8, v80
	;; [unrolled: 1-line block ×8, first 2 shown]
	v_add_f16_e32 v50, v45, v36
	v_fma_f16 v50, v50, -0.5, v31
	v_add_f16_e32 v31, v31, v45
	v_add_f16_e32 v31, v31, v46
	;; [unrolled: 1-line block ×3, first 2 shown]
	v_sub_f16_e32 v45, v46, v45
	v_add_f16_e32 v31, v31, v36
	v_sub_f16_e32 v36, v47, v36
	v_add_f16_e32 v36, v45, v36
	v_fma_f16 v45, v48, s14, v50
	v_fma_f16 v46, v48, s1, v50
	;; [unrolled: 1-line block ×6, first 2 shown]
	v_sub_f16_e32 v39, v40, v42
	v_sub_f16_e32 v46, v82, v43
	v_add_f16_e32 v39, v39, v46
	v_add_f16_e32 v46, v42, v43
	v_fma_f16 v46, v46, -0.5, v44
	v_sub_f16_e32 v47, v37, v32
	v_fma_f16 v48, v47, s14, v46
	v_sub_f16_e32 v50, v38, v35
	v_fma_f16 v46, v47, s1, v46
	v_fma_f16 v48, v50, s9, v48
	;; [unrolled: 1-line block ×5, first 2 shown]
	v_sub_f16_e32 v46, v42, v40
	v_sub_f16_e32 v86, v43, v82
	v_add_f16_e32 v46, v46, v86
	v_add_f16_e32 v86, v40, v82
	v_fma_f16 v86, v86, -0.5, v44
	v_fma_f16 v88, v50, s1, v86
	v_fma_f16 v50, v50, s14, v86
	v_add_f16_e32 v44, v44, v40
	v_fma_f16 v86, v47, s9, v88
	v_fma_f16 v47, v47, s0, v50
	v_add_f16_e32 v44, v44, v42
	;; [unrolled: 3-line block ×3, first 2 shown]
	v_sub_f16_e32 v42, v42, v43
	v_sub_f16_e32 v43, v37, v38
	;; [unrolled: 1-line block ×3, first 2 shown]
	v_add_f16_e32 v43, v43, v47
	v_add_f16_e32 v47, v38, v35
	v_sub_f16_e32 v40, v40, v82
	v_fma_f16 v47, v47, -0.5, v41
	v_add_f16_e32 v44, v44, v82
	v_fma_f16 v82, v40, s1, v47
	v_fma_f16 v47, v40, s14, v47
	;; [unrolled: 1-line block ×6, first 2 shown]
	v_add_f16_e32 v47, v37, v32
	v_fma_f16 v47, v47, -0.5, v41
	v_add_f16_e32 v41, v41, v37
	v_add_f16_e32 v41, v41, v38
	v_sub_f16_e32 v37, v38, v37
	v_add_f16_e32 v38, v41, v35
	v_add_f16_e32 v38, v38, v32
	v_sub_f16_e32 v32, v35, v32
	v_add_f16_e32 v32, v37, v32
	v_fma_f16 v35, v42, s14, v47
	v_fma_f16 v37, v42, s1, v47
	;; [unrolled: 1-line block ×6, first 2 shown]
	v_mul_f16_e32 v42, 0xbb9c, v32
	v_mul_f16_e32 v32, 0xb4f2, v32
	v_mul_f16_e32 v37, 0xb8b4, v82
	v_mul_f16_e32 v40, 0x3a79, v82
	v_mul_f16_e32 v41, 0xbb9c, v35
	v_fma_f16 v42, v46, s15, v42
	v_fma_f16 v32, v46, s1, v32
	v_mul_f16_e32 v46, 0xb8b4, v43
	v_mul_f16_e32 v43, 0xba79, v43
	v_fma_f16 v37, v48, s17, v37
	v_fma_f16 v40, v48, s0, v40
	;; [unrolled: 1-line block ×3, first 2 shown]
	v_mul_f16_e32 v35, 0x34f2, v35
	v_fma_f16 v46, v39, s16, v46
	v_fma_f16 v39, v39, s0, v43
	v_add_f16_e32 v43, v5, v44
	v_sub_f16_e32 v5, v5, v44
	s_movk_i32 s0, 0x5a
	v_fma_f16 v35, v50, s1, v35
	v_add_f16_e32 v44, v81, v37
	v_sub_f16_e32 v37, v81, v37
	v_add_f16_e32 v47, v85, v41
	v_sub_f16_e32 v41, v85, v41
	;; [unrolled: 2-line block ×4, first 2 shown]
	s_barrier
	ds_write_b16 v26, v87
	ds_write_b16 v26, v90 offset:18
	ds_write_b16 v26, v91 offset:36
	ds_write_b16 v26, v93 offset:54
	ds_write_b16 v26, v94 offset:72
	ds_write_b16 v26, v89 offset:90
	ds_write_b16 v26, v83 offset:108
	ds_write_b16 v26, v84 offset:126
	ds_write_b16 v26, v78 offset:144
	ds_write_b16 v26, v95 offset:162
	ds_write_b16 v28, v71
	ds_write_b16 v28, v60 offset:18
	ds_write_b16 v28, v75 offset:36
	ds_write_b16 v28, v77 offset:54
	ds_write_b16 v28, v68 offset:72
	ds_write_b16 v28, v29 offset:90
	ds_write_b16 v28, v54 offset:108
	ds_write_b16 v28, v61 offset:126
	ds_write_b16 v28, v66 offset:144
	ds_write_b16 v28, v67 offset:162
	;; [unrolled: 10-line block ×3, first 2 shown]
	v_add_u32_e32 v5, 0xffffffa6, v7
	v_cmp_gt_u32_e64 s[0:1], s0, v7
	v_cndmask_b32_e64 v24, v5, v7, s[0:1]
	v_add_f16_e32 v72, v31, v38
	v_sub_f16_e32 v31, v31, v38
	v_add_f16_e32 v79, v80, v40
	v_sub_f16_e32 v80, v80, v40
	;; [unrolled: 2-line block ×5, first 2 shown]
	s_waitcnt lgkmcnt(0)
	s_barrier
	ds_read_u16 v66, v12 offset:2592
	ds_read_u16 v27, v20
	ds_read_u16 v37, v12
	ds_read_u16 v67, v12 offset:1296
	ds_read_u16 v68, v12 offset:1512
	;; [unrolled: 1-line block ×11, first 2 shown]
	ds_read_u16 v87, v22
	ds_read_u16 v25, v21
	ds_read_u16 v88, v12 offset:2376
	ds_read_u16 v89, v12 offset:2160
	;; [unrolled: 1-line block ×11, first 2 shown]
	ds_read_u16 v32, v16
	ds_read_u16 v35, v15
	ds_read_u16 v38, v12 offset:6264
	s_waitcnt lgkmcnt(0)
	s_barrier
	ds_write_b16 v26, v56
	ds_write_b16 v26, v59 offset:18
	ds_write_b16 v26, v63 offset:36
	ds_write_b16 v26, v64 offset:54
	ds_write_b16 v26, v65 offset:72
	ds_write_b16 v26, v30 offset:90
	ds_write_b16 v26, v33 offset:108
	ds_write_b16 v26, v34 offset:126
	ds_write_b16 v26, v55 offset:144
	ds_write_b16 v26, v58 offset:162
	ds_write_b16 v28, v74
	ds_write_b16 v28, v73 offset:18
	ds_write_b16 v28, v76 offset:36
	ds_write_b16 v28, v70 offset:54
	ds_write_b16 v28, v69 offset:72
	ds_write_b16 v28, v51 offset:90
	ds_write_b16 v28, v57 offset:108
	ds_write_b16 v28, v53 offset:126
	ds_write_b16 v28, v52 offset:144
	ds_write_b16 v28, v62 offset:162
	;; [unrolled: 10-line block ×3, first 2 shown]
	v_mul_i32_i24_e32 v5, 5, v24
	v_mov_b32_e32 v6, 0
	v_lshlrev_b64 v[28:29], 2, v[5:6]
	v_mov_b32_e32 v5, s13
	v_add_co_u32_e64 v63, s[0:1], s12, v28
	v_addc_co_u32_e64 v64, s[0:1], v5, v29, s[0:1]
	s_movk_i32 s0, 0xb7
	v_mul_lo_u16_sdwa v5, v8, s0 dst_sel:DWORD dst_unused:UNUSED_PAD src0_sel:BYTE_0 src1_sel:DWORD
	s_waitcnt lgkmcnt(0)
	s_barrier
	global_load_dwordx4 v[43:46], v[63:64], off offset:348
	v_lshrrev_b16_e32 v5, 14, v5
	v_mul_lo_u16_e32 v26, 0x5a, v5
	v_sub_u16_e32 v26, v8, v26
	v_mov_b32_e32 v28, 5
	v_mul_u32_u24_sdwa v28, v26, v28 dst_sel:DWORD dst_unused:UNUSED_PAD src0_sel:BYTE_0 src1_sel:DWORD
	v_lshlrev_b32_e32 v65, 2, v28
	global_load_dwordx4 v[47:50], v65, s[12:13] offset:348
	s_movk_i32 s0, 0x2d83
	v_mul_u32_u24_sdwa v28, v9, s0 dst_sel:DWORD dst_unused:UNUSED_PAD src0_sel:WORD_0 src1_sel:DWORD
	v_lshrrev_b32_e32 v28, 20, v28
	v_mul_lo_u16_e32 v29, 0x5a, v28
	v_sub_u16_e32 v29, v9, v29
	v_mul_u32_u24_e32 v30, 5, v29
	v_lshlrev_b32_e32 v30, 2, v30
	global_load_dwordx4 v[51:54], v30, s[12:13] offset:348
	global_load_dword v69, v30, s[12:13] offset:364
	v_mul_u32_u24_sdwa v30, v10, s0 dst_sel:DWORD dst_unused:UNUSED_PAD src0_sel:WORD_0 src1_sel:DWORD
	v_lshrrev_b32_e32 v30, 20, v30
	v_mul_lo_u16_e32 v31, 0x5a, v30
	v_sub_u16_e32 v31, v10, v31
	v_mul_u32_u24_e32 v33, 5, v31
	v_lshlrev_b32_e32 v33, 2, v33
	ds_read_u16 v70, v12 offset:2592
	ds_read_u16 v72, v12 offset:1296
	;; [unrolled: 1-line block ×4, first 2 shown]
	global_load_dword v76, v33, s[12:13] offset:364
	global_load_dwordx4 v[55:58], v33, s[12:13] offset:348
	v_mul_u32_u24_sdwa v33, v11, s0 dst_sel:DWORD dst_unused:UNUSED_PAD src0_sel:WORD_0 src1_sel:DWORD
	v_lshrrev_b32_e32 v33, 20, v33
	v_mul_lo_u16_e32 v34, 0x5a, v33
	v_sub_u16_e32 v34, v11, v34
	v_mul_u32_u24_e32 v59, 5, v34
	v_lshlrev_b32_e32 v100, 2, v59
	ds_read_u16 v79, v12 offset:3672
	ds_read_u16 v80, v12 offset:3888
	ds_read_u16 v81, v22
	ds_read_u16 v36, v21
	ds_read_u16 v82, v12 offset:2376
	ds_read_u16 v85, v12 offset:2160
	;; [unrolled: 1-line block ×5, first 2 shown]
	global_load_dword v101, v100, s[12:13] offset:364
	global_load_dwordx4 v[59:62], v100, s[12:13] offset:348
	ds_read_u16 v100, v12 offset:3456
	ds_read_u16 v102, v12 offset:3240
	;; [unrolled: 1-line block ×3, first 2 shown]
	global_load_dword v63, v[63:64], off offset:364
	s_movk_i32 s0, 0x59
	global_load_dword v65, v65, s[12:13] offset:364
	v_cmp_lt_u32_e64 s[0:1], s0, v7
	v_lshlrev_b32_e32 v24, 1, v24
	v_lshlrev_b32_sdwa v23, v23, v26 dst_sel:DWORD dst_unused:UNUSED_PAD src0_sel:DWORD src1_sel:BYTE_0
	v_mul_u32_u24_e32 v5, 0x438, v5
	v_add3_u32 v5, 0, v5, v23
	v_mul_u32_u24_e32 v23, 0x438, v28
	s_waitcnt vmcnt(9) lgkmcnt(9)
	v_mul_f16_sdwa v64, v81, v43 dst_sel:DWORD dst_unused:UNUSED_PAD src0_sel:DWORD src1_sel:WORD_1
	v_fma_f16 v64, v87, v43, v64
	v_mul_f16_sdwa v87, v87, v43 dst_sel:DWORD dst_unused:UNUSED_PAD src0_sel:DWORD src1_sel:WORD_1
	v_fma_f16 v43, v81, v43, -v87
	s_waitcnt lgkmcnt(6)
	v_mul_f16_sdwa v81, v85, v44 dst_sel:DWORD dst_unused:UNUSED_PAD src0_sel:DWORD src1_sel:WORD_1
	v_mul_f16_sdwa v87, v89, v44 dst_sel:DWORD dst_unused:UNUSED_PAD src0_sel:DWORD src1_sel:WORD_1
	v_fma_f16 v81, v89, v44, v81
	v_fma_f16 v44, v85, v44, -v87
	s_waitcnt lgkmcnt(1)
	v_mul_f16_sdwa v85, v102, v45 dst_sel:DWORD dst_unused:UNUSED_PAD src0_sel:DWORD src1_sel:WORD_1
	v_mul_f16_sdwa v87, v94, v45 dst_sel:DWORD dst_unused:UNUSED_PAD src0_sel:DWORD src1_sel:WORD_1
	v_fma_f16 v85, v94, v45, v85
	v_fma_f16 v45, v102, v45, -v87
	v_mul_f16_sdwa v87, v98, v46 dst_sel:DWORD dst_unused:UNUSED_PAD src0_sel:DWORD src1_sel:WORD_1
	v_fma_f16 v87, v91, v46, v87
	v_mul_f16_sdwa v89, v91, v46 dst_sel:DWORD dst_unused:UNUSED_PAD src0_sel:DWORD src1_sel:WORD_1
	s_waitcnt vmcnt(8)
	v_mul_f16_sdwa v91, v72, v47 dst_sel:DWORD dst_unused:UNUSED_PAD src0_sel:DWORD src1_sel:WORD_1
	v_fma_f16 v91, v67, v47, v91
	v_mul_f16_sdwa v67, v67, v47 dst_sel:DWORD dst_unused:UNUSED_PAD src0_sel:DWORD src1_sel:WORD_1
	v_fma_f16 v67, v72, v47, -v67
	v_mul_f16_sdwa v47, v82, v48 dst_sel:DWORD dst_unused:UNUSED_PAD src0_sel:DWORD src1_sel:WORD_1
	v_fma_f16 v72, v88, v48, v47
	v_mul_f16_sdwa v47, v88, v48 dst_sel:DWORD dst_unused:UNUSED_PAD src0_sel:DWORD src1_sel:WORD_1
	v_fma_f16 v48, v82, v48, -v47
	;; [unrolled: 4-line block ×3, first 2 shown]
	ds_read_u16 v89, v12
	v_fma_f16 v49, v100, v49, -v47
	ds_read_u16 v47, v12 offset:5832
	ds_read_u16 v88, v12 offset:6048
	;; [unrolled: 1-line block ×8, first 2 shown]
	s_waitcnt lgkmcnt(5)
	v_mul_f16_sdwa v105, v93, v50 dst_sel:DWORD dst_unused:UNUSED_PAD src0_sel:DWORD src1_sel:WORD_1
	v_fma_f16 v105, v83, v50, v105
	v_mul_f16_sdwa v83, v83, v50 dst_sel:DWORD dst_unused:UNUSED_PAD src0_sel:DWORD src1_sel:WORD_1
	v_fma_f16 v50, v93, v50, -v83
	s_waitcnt vmcnt(7)
	v_mul_f16_sdwa v83, v73, v51 dst_sel:DWORD dst_unused:UNUSED_PAD src0_sel:DWORD src1_sel:WORD_1
	v_fma_f16 v83, v68, v51, v83
	v_mul_f16_sdwa v68, v68, v51 dst_sel:DWORD dst_unused:UNUSED_PAD src0_sel:DWORD src1_sel:WORD_1
	v_fma_f16 v68, v73, v51, -v68
	v_mul_f16_sdwa v51, v70, v52 dst_sel:DWORD dst_unused:UNUSED_PAD src0_sel:DWORD src1_sel:WORD_1
	v_fma_f16 v73, v66, v52, v51
	v_mul_f16_sdwa v51, v66, v52 dst_sel:DWORD dst_unused:UNUSED_PAD src0_sel:DWORD src1_sel:WORD_1
	v_fma_f16 v66, v70, v52, -v51
	;; [unrolled: 4-line block ×3, first 2 shown]
	s_waitcnt lgkmcnt(4)
	v_mul_f16_sdwa v51, v94, v54 dst_sel:DWORD dst_unused:UNUSED_PAD src0_sel:DWORD src1_sel:WORD_1
	v_fma_f16 v79, v84, v54, v51
	v_mul_f16_sdwa v51, v84, v54 dst_sel:DWORD dst_unused:UNUSED_PAD src0_sel:DWORD src1_sel:WORD_1
	v_fma_f16 v84, v94, v54, -v51
	ds_read_u16 v51, v12 offset:2808
	s_waitcnt vmcnt(4)
	v_mul_f16_sdwa v52, v74, v55 dst_sel:DWORD dst_unused:UNUSED_PAD src0_sel:DWORD src1_sel:WORD_1
	v_fma_f16 v93, v71, v55, v52
	v_mul_f16_sdwa v52, v71, v55 dst_sel:DWORD dst_unused:UNUSED_PAD src0_sel:DWORD src1_sel:WORD_1
	v_fma_f16 v71, v74, v55, -v52
	s_waitcnt lgkmcnt(0)
	v_mul_f16_sdwa v52, v51, v56 dst_sel:DWORD dst_unused:UNUSED_PAD src0_sel:DWORD src1_sel:WORD_1
	v_fma_f16 v74, v75, v56, v52
	v_mul_f16_sdwa v52, v75, v56 dst_sel:DWORD dst_unused:UNUSED_PAD src0_sel:DWORD src1_sel:WORD_1
	v_fma_f16 v75, v51, v56, -v52
	v_mul_f16_sdwa v51, v80, v57 dst_sel:DWORD dst_unused:UNUSED_PAD src0_sel:DWORD src1_sel:WORD_1
	v_fma_f16 v94, v78, v57, v51
	v_mul_f16_sdwa v51, v78, v57 dst_sel:DWORD dst_unused:UNUSED_PAD src0_sel:DWORD src1_sel:WORD_1
	v_fma_f16 v78, v80, v57, -v51
	;; [unrolled: 4-line block ×3, first 2 shown]
	s_waitcnt vmcnt(2)
	v_mul_f16_sdwa v51, v97, v59 dst_sel:DWORD dst_unused:UNUSED_PAD src0_sel:DWORD src1_sel:WORD_1
	v_fma_f16 v98, v90, v59, v51
	v_mul_f16_sdwa v51, v90, v59 dst_sel:DWORD dst_unused:UNUSED_PAD src0_sel:DWORD src1_sel:WORD_1
	v_fma_f16 v90, v97, v59, -v51
	v_mul_f16_sdwa v51, v103, v60 dst_sel:DWORD dst_unused:UNUSED_PAD src0_sel:DWORD src1_sel:WORD_1
	v_fma_f16 v97, v95, v60, v51
	v_mul_f16_sdwa v51, v95, v60 dst_sel:DWORD dst_unused:UNUSED_PAD src0_sel:DWORD src1_sel:WORD_1
	v_fma_f16 v95, v103, v60, -v51
	;; [unrolled: 4-line block ×4, first 2 shown]
	s_waitcnt vmcnt(1)
	v_mul_f16_sdwa v51, v104, v63 dst_sel:DWORD dst_unused:UNUSED_PAD src0_sel:DWORD src1_sel:WORD_1
	s_waitcnt vmcnt(0)
	v_mul_f16_sdwa v52, v102, v65 dst_sel:DWORD dst_unused:UNUSED_PAD src0_sel:DWORD src1_sel:WORD_1
	v_fma_f16 v51, v42, v63, v51
	v_mul_f16_sdwa v42, v42, v63 dst_sel:DWORD dst_unused:UNUSED_PAD src0_sel:DWORD src1_sel:WORD_1
	v_fma_f16 v56, v41, v65, v52
	v_mul_f16_sdwa v52, v47, v69 dst_sel:DWORD dst_unused:UNUSED_PAD src0_sel:DWORD src1_sel:WORD_1
	v_fma_f16 v42, v104, v63, -v42
	v_fma_f16 v63, v40, v69, v52
	v_mul_f16_sdwa v40, v40, v69 dst_sel:DWORD dst_unused:UNUSED_PAD src0_sel:DWORD src1_sel:WORD_1
	v_mul_f16_sdwa v41, v41, v65 dst_sel:DWORD dst_unused:UNUSED_PAD src0_sel:DWORD src1_sel:WORD_1
	v_fma_f16 v40, v47, v69, -v40
	v_mul_f16_sdwa v47, v88, v76 dst_sel:DWORD dst_unused:UNUSED_PAD src0_sel:DWORD src1_sel:WORD_1
	v_fma_f16 v41, v102, v65, -v41
	v_fma_f16 v65, v39, v76, v47
	ds_read_u16 v47, v12 offset:6264
	v_mul_f16_sdwa v39, v39, v76 dst_sel:DWORD dst_unused:UNUSED_PAD src0_sel:DWORD src1_sel:WORD_1
	v_fma_f16 v39, v88, v76, -v39
	ds_read_u16 v69, v20
	ds_read_u16 v76, v16
	;; [unrolled: 1-line block ×3, first 2 shown]
	s_waitcnt lgkmcnt(0)
	v_mul_f16_sdwa v52, v47, v101 dst_sel:DWORD dst_unused:UNUSED_PAD src0_sel:DWORD src1_sel:WORD_1
	v_fma_f16 v88, v38, v101, v52
	v_mul_f16_sdwa v38, v38, v101 dst_sel:DWORD dst_unused:UNUSED_PAD src0_sel:DWORD src1_sel:WORD_1
	v_fma_f16 v38, v47, v101, -v38
	v_add_f16_e32 v47, v81, v87
	v_fma_f16 v47, v47, -0.5, v37
	v_sub_f16_e32 v52, v44, v46
	v_fma_f16 v53, v52, s6, v47
	v_fma_f16 v47, v52, s7, v47
	v_add_f16_e32 v52, v89, v44
	v_add_f16_e32 v44, v44, v46
	;; [unrolled: 1-line block ×3, first 2 shown]
	v_fma_f16 v44, v44, -0.5, v89
	v_sub_f16_e32 v46, v81, v87
	v_fma_f16 v55, v46, s7, v44
	v_fma_f16 v44, v46, s6, v44
	v_add_f16_e32 v46, v85, v51
	v_fma_f16 v46, v46, -0.5, v64
	v_sub_f16_e32 v52, v45, v42
	v_fma_f16 v58, v52, s6, v46
	v_fma_f16 v46, v52, s7, v46
	v_add_f16_e32 v52, v43, v45
	v_add_f16_e32 v59, v52, v42
	v_add_f16_e32 v42, v45, v42
	v_fma_f16 v42, v42, -0.5, v43
	v_add_f16_e32 v43, v64, v85
	v_sub_f16_e32 v45, v85, v51
	v_add_f16_e32 v43, v43, v51
	v_fma_f16 v51, v45, s7, v42
	v_fma_f16 v42, v45, s6, v42
	v_add_f16_e32 v37, v37, v81
	v_mul_f16_e32 v45, 0xbaee, v51
	v_mul_f16_e32 v51, 0.5, v51
	v_mul_f16_e32 v52, 0xbaee, v42
	v_mul_f16_e32 v42, -0.5, v42
	v_add_f16_e32 v37, v37, v87
	v_fma_f16 v45, v58, 0.5, v45
	v_fma_f16 v51, v58, s7, v51
	v_fma_f16 v52, v46, -0.5, v52
	v_fma_f16 v42, v46, s7, v42
	v_add_f16_e32 v46, v37, v43
	v_sub_f16_e32 v37, v37, v43
	v_add_f16_e32 v43, v53, v45
	v_sub_f16_e32 v45, v53, v45
	;; [unrolled: 2-line block ×6, first 2 shown]
	v_add_f16_e32 v42, v72, v105
	v_fma_f16 v42, v42, -0.5, v35
	v_sub_f16_e32 v44, v48, v50
	v_fma_f16 v58, v44, s6, v42
	v_fma_f16 v42, v44, s7, v42
	v_add_f16_e32 v44, v57, v48
	v_add_f16_e32 v48, v48, v50
	;; [unrolled: 1-line block ×3, first 2 shown]
	v_fma_f16 v48, v48, -0.5, v57
	v_sub_f16_e32 v50, v72, v105
	v_fma_f16 v57, v50, s7, v48
	v_fma_f16 v48, v50, s6, v48
	v_add_f16_e32 v50, v82, v56
	v_fma_f16 v50, v50, -0.5, v91
	v_sub_f16_e32 v59, v49, v41
	v_fma_f16 v60, v59, s6, v50
	v_fma_f16 v50, v59, s7, v50
	v_add_f16_e32 v59, v67, v49
	v_add_f16_e32 v59, v59, v41
	;; [unrolled: 1-line block ×4, first 2 shown]
	v_fma_f16 v41, v41, -0.5, v67
	v_add_f16_e32 v49, v49, v56
	v_sub_f16_e32 v56, v82, v56
	v_fma_f16 v61, v56, s7, v41
	v_fma_f16 v41, v56, s6, v41
	v_mul_f16_e32 v56, 0xbaee, v61
	v_mul_f16_e32 v61, 0.5, v61
	v_add_f16_e32 v35, v35, v72
	v_fma_f16 v56, v60, 0.5, v56
	v_fma_f16 v61, v60, s7, v61
	v_mul_f16_e32 v60, 0xbaee, v41
	v_mul_f16_e32 v41, -0.5, v41
	v_add_f16_e32 v35, v35, v105
	v_fma_f16 v60, v50, -0.5, v60
	v_fma_f16 v41, v50, s7, v41
	v_add_f16_e32 v50, v35, v49
	v_sub_f16_e32 v35, v35, v49
	v_add_f16_e32 v49, v58, v56
	v_sub_f16_e32 v67, v58, v56
	;; [unrolled: 2-line block ×6, first 2 shown]
	v_add_f16_e32 v41, v73, v79
	v_fma_f16 v41, v41, -0.5, v32
	v_sub_f16_e32 v44, v66, v84
	v_fma_f16 v48, v44, s6, v41
	v_fma_f16 v41, v44, s7, v41
	v_add_f16_e32 v44, v76, v66
	v_add_f16_e32 v66, v66, v84
	v_fma_f16 v66, v66, -0.5, v76
	v_add_f16_e32 v32, v32, v73
	v_sub_f16_e32 v73, v73, v79
	v_fma_f16 v76, v73, s7, v66
	v_fma_f16 v66, v73, s6, v66
	v_add_f16_e32 v73, v70, v63
	v_add_f16_e32 v32, v32, v79
	v_fma_f16 v73, v73, -0.5, v83
	v_sub_f16_e32 v79, v77, v40
	v_fma_f16 v82, v79, s6, v73
	v_fma_f16 v73, v79, s7, v73
	v_add_f16_e32 v79, v68, v77
	v_add_f16_e32 v79, v79, v40
	v_add_f16_e32 v40, v77, v40
	v_fma_f16 v40, v40, -0.5, v68
	v_add_f16_e32 v68, v83, v70
	v_add_f16_e32 v68, v68, v63
	v_sub_f16_e32 v63, v70, v63
	v_fma_f16 v70, v63, s7, v40
	v_fma_f16 v40, v63, s6, v40
	v_mul_f16_e32 v63, 0xbaee, v70
	v_mul_f16_e32 v70, 0.5, v70
	v_mul_f16_e32 v77, 0xbaee, v40
	v_mul_f16_e32 v40, -0.5, v40
	v_fma_f16 v70, v82, s7, v70
	v_fma_f16 v40, v73, s7, v40
	v_add_f16_e32 v44, v44, v84
	v_fma_f16 v63, v82, 0.5, v63
	v_fma_f16 v77, v73, -0.5, v77
	v_add_f16_e32 v82, v76, v70
	v_sub_f16_e32 v70, v76, v70
	v_add_f16_e32 v76, v66, v40
	v_sub_f16_e32 v66, v66, v40
	v_add_f16_e32 v40, v74, v80
	v_add_f16_e32 v73, v32, v68
	v_sub_f16_e32 v32, v32, v68
	v_add_f16_e32 v68, v48, v63
	v_sub_f16_e32 v48, v48, v63
	;; [unrolled: 2-line block ×4, first 2 shown]
	v_fma_f16 v40, v40, -0.5, v27
	v_sub_f16_e32 v44, v75, v86
	v_fma_f16 v83, v44, s6, v40
	v_fma_f16 v40, v44, s7, v40
	v_add_f16_e32 v44, v69, v75
	v_add_f16_e32 v75, v75, v86
	v_fma_f16 v69, v75, -0.5, v69
	v_add_f16_e32 v27, v27, v74
	v_sub_f16_e32 v74, v74, v80
	v_fma_f16 v75, v74, s7, v69
	v_fma_f16 v69, v74, s6, v69
	v_add_f16_e32 v74, v94, v65
	v_add_f16_e32 v27, v27, v80
	v_fma_f16 v74, v74, -0.5, v93
	v_sub_f16_e32 v80, v78, v39
	v_fma_f16 v84, v80, s6, v74
	v_fma_f16 v74, v80, s7, v74
	v_add_f16_e32 v80, v71, v78
	v_add_f16_e32 v80, v80, v39
	;; [unrolled: 1-line block ×3, first 2 shown]
	v_fma_f16 v39, v39, -0.5, v71
	v_add_f16_e32 v71, v93, v94
	v_add_f16_e32 v71, v71, v65
	v_sub_f16_e32 v65, v94, v65
	v_fma_f16 v78, v65, s7, v39
	v_fma_f16 v39, v65, s6, v39
	v_mul_f16_e32 v65, 0xbaee, v78
	v_mul_f16_e32 v78, 0.5, v78
	v_fma_f16 v65, v84, 0.5, v65
	v_fma_f16 v78, v84, s7, v78
	v_mul_f16_e32 v84, 0xbaee, v39
	v_mul_f16_e32 v39, -0.5, v39
	v_fma_f16 v39, v74, s7, v39
	v_add_f16_e32 v44, v44, v86
	v_fma_f16 v84, v74, -0.5, v84
	v_add_f16_e32 v85, v75, v78
	v_sub_f16_e32 v75, v75, v78
	v_add_f16_e32 v78, v69, v39
	v_sub_f16_e32 v69, v69, v39
	v_add_f16_e32 v39, v97, v99
	v_add_f16_e32 v74, v27, v71
	v_sub_f16_e32 v27, v27, v71
	v_add_f16_e32 v71, v83, v65
	v_sub_f16_e32 v65, v83, v65
	;; [unrolled: 2-line block ×4, first 2 shown]
	v_fma_f16 v39, v39, -0.5, v25
	v_sub_f16_e32 v44, v95, v62
	v_fma_f16 v86, v44, s6, v39
	v_fma_f16 v39, v44, s7, v39
	v_add_f16_e32 v44, v36, v95
	v_add_f16_e32 v44, v44, v62
	;; [unrolled: 1-line block ×3, first 2 shown]
	v_fma_f16 v36, v62, -0.5, v36
	v_sub_f16_e32 v62, v97, v99
	v_fma_f16 v87, v62, s7, v36
	v_fma_f16 v36, v62, s6, v36
	v_add_f16_e32 v62, v103, v88
	v_fma_f16 v62, v62, -0.5, v98
	v_sub_f16_e32 v89, v92, v38
	v_fma_f16 v91, v89, s6, v62
	v_fma_f16 v62, v89, s7, v62
	v_add_f16_e32 v89, v90, v92
	v_add_f16_e32 v89, v89, v38
	;; [unrolled: 1-line block ×3, first 2 shown]
	v_fma_f16 v38, v38, -0.5, v90
	v_add_f16_e32 v90, v98, v103
	v_add_f16_e32 v90, v90, v88
	v_sub_f16_e32 v88, v103, v88
	v_fma_f16 v92, v88, s7, v38
	v_fma_f16 v38, v88, s6, v38
	v_mul_f16_e32 v88, 0xbaee, v92
	v_mul_f16_e32 v92, 0.5, v92
	v_fma_f16 v88, v91, 0.5, v88
	v_fma_f16 v91, v91, s7, v92
	v_mul_f16_e32 v92, 0xbaee, v38
	v_mul_f16_e32 v38, -0.5, v38
	v_fma_f16 v38, v62, s7, v38
	v_add_f16_e32 v93, v87, v91
	v_sub_f16_e32 v87, v87, v91
	v_add_f16_e32 v91, v36, v38
	v_sub_f16_e32 v94, v36, v38
	v_mov_b32_e32 v36, 0x438
	v_cndmask_b32_e64 v36, 0, v36, s[0:1]
	v_add3_u32 v95, 0, v36, v24
	v_lshlrev_b32_e32 v24, 1, v29
	v_add_f16_e32 v25, v25, v97
	s_barrier
	ds_write_b16 v95, v46
	ds_write_b16 v95, v43 offset:180
	ds_write_b16 v95, v64 offset:360
	;; [unrolled: 1-line block ×5, first 2 shown]
	v_add3_u32 v64, 0, v23, v24
	v_mul_u32_u24_e32 v23, 0x438, v30
	v_lshlrev_b32_e32 v24, 1, v31
	v_add_f16_e32 v25, v25, v99
	v_fma_f16 v92, v62, -0.5, v92
	ds_write_b16 v5, v50
	ds_write_b16 v5, v49 offset:180
	ds_write_b16 v5, v72 offset:360
	;; [unrolled: 1-line block ×5, first 2 shown]
	ds_write_b16 v64, v73
	ds_write_b16 v64, v68 offset:180
	ds_write_b16 v64, v63 offset:360
	ds_write_b16 v64, v32 offset:540
	ds_write_b16 v64, v48 offset:720
	ds_write_b16 v64, v41 offset:900
	v_add3_u32 v63, 0, v23, v24
	v_mul_u32_u24_e32 v23, 0x438, v33
	v_lshlrev_b32_e32 v24, 1, v34
	v_add_f16_e32 v62, v25, v90
	v_sub_f16_e32 v25, v25, v90
	v_add_f16_e32 v90, v86, v88
	v_sub_f16_e32 v86, v86, v88
	;; [unrolled: 2-line block ×3, first 2 shown]
	ds_write_b16 v63, v74
	ds_write_b16 v63, v71 offset:180
	ds_write_b16 v63, v83 offset:360
	;; [unrolled: 1-line block ×5, first 2 shown]
	v_add3_u32 v65, 0, v23, v24
	v_add_f16_e32 v92, v44, v89
	v_sub_f16_e32 v89, v44, v89
	ds_write_b16 v65, v62
	ds_write_b16 v65, v90 offset:180
	ds_write_b16 v65, v88 offset:360
	;; [unrolled: 1-line block ×5, first 2 shown]
	s_waitcnt lgkmcnt(0)
	s_barrier
	ds_read_u16 v36, v12 offset:2592
	ds_read_u16 v42, v20
	ds_read_u16 v20, v12
	ds_read_u16 v26, v12 offset:1296
	ds_read_u16 v37, v12 offset:1512
	;; [unrolled: 1-line block ×11, first 2 shown]
	ds_read_u16 v22, v22
	ds_read_u16 v29, v21
	ds_read_u16 v33, v12 offset:2376
	ds_read_u16 v25, v12 offset:2160
	;; [unrolled: 1-line block ×11, first 2 shown]
	ds_read_u16 v40, v16
	ds_read_u16 v28, v15
	ds_read_u16 v50, v12 offset:6264
	s_waitcnt lgkmcnt(0)
	s_barrier
	ds_write_b16 v95, v52
	ds_write_b16 v95, v54 offset:180
	ds_write_b16 v95, v55 offset:360
	ds_write_b16 v95, v47 offset:540
	ds_write_b16 v95, v51 offset:720
	ds_write_b16 v95, v53 offset:900
	ds_write_b16 v5, v58
	ds_write_b16 v5, v60 offset:180
	ds_write_b16 v5, v61 offset:360
	ds_write_b16 v5, v56 offset:540
	ds_write_b16 v5, v57 offset:720
	ds_write_b16 v5, v59 offset:900
	;; [unrolled: 6-line block ×5, first 2 shown]
	s_waitcnt lgkmcnt(0)
	s_barrier
	s_and_saveexec_b64 s[0:1], vcc
	s_cbranch_execz .LBB0_15
; %bb.14:
	v_mul_i32_i24_e32 v5, 5, v11
	v_lshlrev_b64 v[52:53], 2, v[5:6]
	v_mov_b32_e32 v51, s13
	v_add_co_u32_e32 v56, vcc, s12, v52
	v_addc_co_u32_e32 v57, vcc, v51, v53, vcc
	global_load_dwordx4 v[52:55], v[56:57], off offset:2148
	global_load_dword v60, v[56:57], off offset:2164
	v_sub_u32_e32 v5, 0, v18
	v_add_u32_e32 v14, v14, v5
	v_mul_i32_i24_e32 v5, 5, v10
	v_lshlrev_b64 v[10:11], 2, v[5:6]
	v_sub_u32_e32 v47, 0, v19
	v_add_co_u32_e32 v10, vcc, s12, v10
	v_addc_co_u32_e32 v11, vcc, v51, v11, vcc
	ds_read_u16 v19, v12 offset:6264
	ds_read_u16 v62, v12 offset:4320
	;; [unrolled: 1-line block ×20, first 2 shown]
	ds_read_u16 v5, v14
	ds_read_u16 v81, v16
	;; [unrolled: 1-line block ×3, first 2 shown]
	global_load_dwordx4 v[56:59], v[10:11], off offset:2148
	global_load_dword v83, v[10:11], off offset:2164
	v_sub_u32_e32 v61, 0, v17
	v_mul_lo_u32 v17, s5, v3
	v_mul_lo_u32 v18, s4, v4
	v_mad_u64_u32 v[3:4], s[0:1], s4, v3, 0
	v_add_u32_e32 v13, v13, v61
	v_add_u32_e32 v0, v0, v47
	v_add3_u32 v4, v4, v18, v17
	s_mov_b32 s0, 0xf2b9d649
	v_lshlrev_b64 v[3:4], 2, v[3:4]
	s_movk_i32 s1, 0xca8
	ds_read_u16 v0, v0
	s_waitcnt vmcnt(3)
	v_mul_f16_sdwa v10, v32, v53 dst_sel:DWORD dst_unused:UNUSED_PAD src0_sel:DWORD src1_sel:WORD_1
	v_mul_f16_sdwa v11, v49, v55 dst_sel:DWORD dst_unused:UNUSED_PAD src0_sel:DWORD src1_sel:WORD_1
	s_waitcnt lgkmcnt(14)
	v_mul_f16_sdwa v14, v68, v53 dst_sel:DWORD dst_unused:UNUSED_PAD src0_sel:DWORD src1_sel:WORD_1
	s_waitcnt lgkmcnt(10)
	v_mul_f16_sdwa v15, v74, v55 dst_sel:DWORD dst_unused:UNUSED_PAD src0_sel:DWORD src1_sel:WORD_1
	v_mul_f16_sdwa v17, v54, v63 dst_sel:DWORD dst_unused:UNUSED_PAD src0_sel:WORD_1 src1_sel:DWORD
	s_waitcnt vmcnt(2)
	v_mul_f16_sdwa v18, v60, v19 dst_sel:DWORD dst_unused:UNUSED_PAD src0_sel:WORD_1 src1_sel:DWORD
	v_mul_f16_sdwa v84, v31, v54 dst_sel:DWORD dst_unused:UNUSED_PAD src0_sel:DWORD src1_sel:WORD_1
	v_mul_f16_sdwa v85, v50, v60 dst_sel:DWORD dst_unused:UNUSED_PAD src0_sel:DWORD src1_sel:WORD_1
	s_waitcnt lgkmcnt(5)
	v_mul_f16_sdwa v16, v52, v79 dst_sel:DWORD dst_unused:UNUSED_PAD src0_sel:WORD_1 src1_sel:DWORD
	v_mul_f16_sdwa v86, v30, v52 dst_sel:DWORD dst_unused:UNUSED_PAD src0_sel:DWORD src1_sel:WORD_1
	v_fma_f16 v68, v53, v68, -v10
	v_fma_f16 v74, v55, v74, -v11
	v_fma_f16 v32, v32, v53, v14
	v_fma_f16 v49, v49, v55, v15
	;; [unrolled: 1-line block ×4, first 2 shown]
	v_fma_f16 v14, v54, v63, -v84
	v_fma_f16 v15, v60, v19, -v85
	v_fma_f16 v30, v30, v52, v16
	v_fma_f16 v16, v52, v79, -v86
	v_add_f16_e32 v10, v68, v74
	v_add_f16_e32 v19, v17, v18
	;; [unrolled: 1-line block ×3, first 2 shown]
	v_sub_f16_e32 v31, v14, v15
	v_sub_f16_e32 v52, v17, v18
	s_waitcnt lgkmcnt(3)
	v_add_f16_e32 v53, v5, v68
	v_fma_f16 v5, v10, -0.5, v5
	v_fma_f16 v10, v19, -0.5, v30
	;; [unrolled: 1-line block ×3, first 2 shown]
	v_add_f16_e32 v14, v16, v14
	v_sub_f16_e32 v11, v32, v49
	v_fma_f16 v55, v52, s6, v19
	v_fma_f16 v19, v52, s7, v19
	v_add_f16_e32 v63, v14, v15
	v_add_f16_e32 v14, v32, v49
	;; [unrolled: 1-line block ×3, first 2 shown]
	v_fma_f16 v53, v11, s6, v5
	v_fma_f16 v54, v31, s7, v10
	;; [unrolled: 1-line block ×4, first 2 shown]
	v_mul_f16_e32 v11, 0.5, v19
	v_fma_f16 v15, v14, -0.5, v29
	v_sub_f16_e32 v68, v68, v74
	v_mul_f16_e32 v10, -0.5, v55
	v_fma_f16 v60, v31, s7, v11
	v_fma_f16 v74, v68, s7, v15
	v_mul_f16_e32 v14, 0xbaee, v55
	v_fma_f16 v55, v68, s6, v15
	v_mul_f16_e32 v15, 0xbaee, v19
	v_add_f16_e32 v19, v29, v32
	v_add_f16_e32 v17, v30, v17
	v_sub_f16_e32 v11, v5, v60
	v_add_f16_e32 v32, v19, v49
	v_add_f16_e32 v49, v17, v18
	v_add_f16_e32 v29, v5, v60
	v_mul_i32_i24_e32 v5, 5, v9
	v_sub_f16_e32 v16, v50, v63
	v_fma_f16 v68, v31, 0.5, v15
	v_sub_f16_e32 v17, v32, v49
	v_add_f16_e32 v31, v50, v63
	v_add_f16_e32 v32, v32, v49
	v_lshlrev_b64 v[49:50], 2, v[5:6]
	ds_read_u16 v5, v13
	ds_read_u16 v60, v12 offset:4752
	s_waitcnt vmcnt(1)
	v_mul_f16_sdwa v9, v46, v57 dst_sel:DWORD dst_unused:UNUSED_PAD src0_sel:DWORD src1_sel:WORD_1
	v_fma_f16 v13, v57, v69, -v9
	v_mul_f16_sdwa v9, v48, v59 dst_sel:DWORD dst_unused:UNUSED_PAD src0_sel:DWORD src1_sel:WORD_1
	v_fma_f16 v61, v59, v75, -v9
	v_add_f16_e32 v9, v13, v61
	s_waitcnt lgkmcnt(1)
	v_fma_f16 v63, v9, -0.5, v5
	v_mul_f16_sdwa v9, v69, v57 dst_sel:DWORD dst_unused:UNUSED_PAD src0_sel:DWORD src1_sel:WORD_1
	v_fma_f16 v46, v46, v57, v9
	v_mul_f16_sdwa v9, v75, v59 dst_sel:DWORD dst_unused:UNUSED_PAD src0_sel:DWORD src1_sel:WORD_1
	v_add_co_u32_e32 v49, vcc, s12, v49
	v_fma_f16 v48, v48, v59, v9
	v_mul_f16_sdwa v9, v56, v80 dst_sel:DWORD dst_unused:UNUSED_PAD src0_sel:WORD_1 src1_sel:DWORD
	v_fma_f16 v52, v54, s7, v10
	v_fma_f16 v54, v54, -0.5, v14
	v_addc_co_u32_e32 v50, vcc, v51, v50, vcc
	v_fma_f16 v69, v43, v56, v9
	v_mul_f16_sdwa v9, v58, v64 dst_sel:DWORD dst_unused:UNUSED_PAD src0_sel:WORD_1 src1_sel:DWORD
	v_sub_f16_e32 v10, v53, v52
	v_sub_f16_e32 v14, v74, v54
	;; [unrolled: 1-line block ×3, first 2 shown]
	v_add_f16_e32 v18, v53, v52
	v_add_f16_e32 v19, v74, v54
	;; [unrolled: 1-line block ×3, first 2 shown]
	global_load_dwordx4 v[52:55], v[49:50], off offset:2148
	global_load_dword v74, v[49:50], off offset:2164
	v_fma_f16 v49, v44, v58, v9
	s_waitcnt vmcnt(2)
	v_mul_f16_sdwa v9, v83, v70 dst_sel:DWORD dst_unused:UNUSED_PAD src0_sel:WORD_1 src1_sel:DWORD
	v_fma_f16 v50, v45, v83, v9
	v_add_f16_e32 v9, v49, v50
	v_fma_f16 v75, v9, -0.5, v69
	v_mul_f16_sdwa v9, v44, v58 dst_sel:DWORD dst_unused:UNUSED_PAD src0_sel:DWORD src1_sel:WORD_1
	v_fma_f16 v44, v58, v64, -v9
	v_mul_f16_sdwa v9, v45, v83 dst_sel:DWORD dst_unused:UNUSED_PAD src0_sel:DWORD src1_sel:WORD_1
	v_fma_f16 v45, v83, v70, -v9
	v_mul_f16_sdwa v9, v43, v56 dst_sel:DWORD dst_unused:UNUSED_PAD src0_sel:DWORD src1_sel:WORD_1
	v_sub_f16_e32 v57, v46, v48
	v_sub_f16_e32 v58, v44, v45
	v_fma_f16 v56, v56, v80, -v9
	v_add_f16_e32 v5, v5, v13
	v_fma_f16 v59, v57, s6, v63
	v_fma_f16 v64, v58, s7, v75
	v_add_f16_e32 v9, v44, v45
	v_fma_f16 v63, v57, s7, v63
	v_fma_f16 v57, v58, s6, v75
	v_add_f16_e32 v75, v5, v61
	v_add_f16_e32 v5, v56, v44
	v_fma_f16 v43, v9, -0.5, v56
	v_sub_f16_e32 v70, v49, v50
	v_add_f16_e32 v83, v5, v45
	v_add_f16_e32 v5, v46, v48
	v_fma_f16 v79, v70, s6, v43
	v_fma_f16 v58, v70, s7, v43
	v_fma_f16 v5, v5, -0.5, v42
	v_sub_f16_e32 v44, v13, v61
	v_mul_f16_e32 v9, -0.5, v79
	v_fma_f16 v61, v44, s7, v5
	v_mul_f16_e32 v13, 0xbaee, v79
	v_fma_f16 v79, v44, s6, v5
	v_mul_f16_e32 v5, 0xbaee, v58
	v_fma_f16 v84, v57, 0.5, v5
	v_add_f16_e32 v5, v42, v46
	v_add_f16_e32 v85, v5, v48
	;; [unrolled: 1-line block ×4, first 2 shown]
	v_mul_i32_i24_e32 v5, 5, v8
	v_lshlrev_b64 v[5:6], 2, v[5:6]
	v_fma_f16 v80, v64, s7, v9
	v_add_co_u32_e32 v50, vcc, s12, v5
	v_mul_f16_e32 v43, 0.5, v58
	v_addc_co_u32_e32 v51, vcc, v51, v6, vcc
	v_sub_f16_e32 v9, v59, v80
	v_fma_f16 v70, v57, s7, v43
	v_add_f16_e32 v46, v59, v80
	global_load_dwordx4 v[56:59], v[50:51], off offset:2148
	ds_read_u16 v68, v12 offset:1512
	v_fma_f16 v64, v64, -0.5, v13
	v_sub_f16_e32 v43, v63, v70
	v_sub_f16_e32 v13, v61, v64
	v_add_f16_e32 v6, v63, v70
	v_add_f16_e32 v5, v61, v64
	ds_read_u16 v64, v12 offset:4536
	v_sub_f16_e32 v45, v75, v83
	v_add_f16_e32 v48, v75, v83
	v_sub_f16_e32 v44, v79, v84
	v_add_f16_e32 v8, v79, v84
	global_load_dword v50, v[50:51], off offset:2164
	v_add_co_u32_e32 v3, vcc, s10, v3
	v_sub_f16_e32 v42, v85, v49
	v_add_f16_e32 v49, v85, v49
	v_pack_b32_f16 v9, v13, v9
	s_waitcnt vmcnt(3)
	v_mul_f16_sdwa v61, v36, v53 dst_sel:DWORD dst_unused:UNUSED_PAD src0_sel:DWORD src1_sel:WORD_1
	v_mul_f16_sdwa v70, v76, v53 dst_sel:DWORD dst_unused:UNUSED_PAD src0_sel:DWORD src1_sel:WORD_1
	v_fma_f16 v61, v53, v76, -v61
	v_mul_f16_sdwa v63, v41, v55 dst_sel:DWORD dst_unused:UNUSED_PAD src0_sel:DWORD src1_sel:WORD_1
	v_fma_f16 v53, v36, v53, v70
	s_waitcnt lgkmcnt(2)
	v_mul_f16_sdwa v36, v60, v55 dst_sel:DWORD dst_unused:UNUSED_PAD src0_sel:DWORD src1_sel:WORD_1
	v_fma_f16 v63, v55, v60, -v63
	v_fma_f16 v41, v41, v55, v36
	ds_read_u16 v60, v12 offset:1296
	s_waitcnt lgkmcnt(2)
	v_mul_f16_sdwa v36, v52, v68 dst_sel:DWORD dst_unused:UNUSED_PAD src0_sel:WORD_1 src1_sel:DWORD
	v_fma_f16 v70, v37, v52, v36
	v_mul_f16_sdwa v36, v54, v65 dst_sel:DWORD dst_unused:UNUSED_PAD src0_sel:WORD_1 src1_sel:DWORD
	v_fma_f16 v75, v38, v54, v36
	s_waitcnt vmcnt(2)
	v_mul_f16_sdwa v36, v74, v71 dst_sel:DWORD dst_unused:UNUSED_PAD src0_sel:WORD_1 src1_sel:DWORD
	v_fma_f16 v76, v39, v74, v36
	v_add_f16_e32 v36, v75, v76
	v_fma_f16 v79, v36, -0.5, v70
	v_mul_f16_sdwa v36, v38, v54 dst_sel:DWORD dst_unused:UNUSED_PAD src0_sel:DWORD src1_sel:WORD_1
	v_fma_f16 v38, v54, v65, -v36
	v_mul_f16_sdwa v36, v39, v74 dst_sel:DWORD dst_unused:UNUSED_PAD src0_sel:DWORD src1_sel:WORD_1
	v_fma_f16 v39, v74, v71, -v36
	;; [unrolled: 2-line block ×3, first 2 shown]
	v_add_f16_e32 v36, v38, v39
	v_fma_f16 v52, v36, -0.5, v37
	v_sub_f16_e32 v68, v75, v76
	v_add_f16_e32 v37, v37, v38
	v_sub_f16_e32 v54, v38, v39
	v_fma_f16 v71, v68, s6, v52
	v_add_f16_e32 v80, v37, v39
	v_add_f16_e32 v37, v53, v41
	v_fma_f16 v65, v54, s7, v79
	v_mul_f16_e32 v36, -0.5, v71
	v_fma_f16 v54, v54, s6, v79
	v_fma_f16 v52, v68, s7, v52
	v_add_f16_e32 v79, v81, v61
	v_fma_f16 v38, v37, -0.5, v40
	v_sub_f16_e32 v39, v61, v63
	v_mul_f16_e32 v37, 0xbaee, v71
	v_add_f16_e32 v69, v61, v63
	v_fma_f16 v74, v65, s7, v36
	v_add_f16_e32 v79, v79, v63
	v_fma_f16 v61, v39, s7, v38
	v_fma_f16 v63, v65, -0.5, v37
	v_fma_f16 v65, v39, s6, v38
	v_mul_f16_e32 v38, 0xbaee, v52
	v_mul_f16_e32 v68, 0.5, v52
	v_fma_f16 v52, v54, 0.5, v38
	v_add_f16_e32 v38, v40, v53
	v_fma_f16 v69, v69, -0.5, v81
	v_sub_f16_e32 v55, v53, v41
	v_add_f16_e32 v53, v38, v41
	v_mul_u32_u24_e32 v38, 5, v7
	v_fma_f16 v51, v55, s6, v69
	v_lshlrev_b32_e32 v71, 2, v38
	v_sub_f16_e32 v36, v51, v74
	v_sub_f16_e32 v37, v61, v63
	global_load_dwordx4 v[38:41], v71, s[12:13] offset:2148
	v_add_f16_e32 v51, v51, v74
	v_add_f16_e32 v61, v61, v63
	s_waitcnt vmcnt(2)
	v_mul_f16_sdwa v63, v33, v57 dst_sel:DWORD dst_unused:UNUSED_PAD src0_sel:DWORD src1_sel:WORD_1
	v_mul_f16_sdwa v74, v77, v57 dst_sel:DWORD dst_unused:UNUSED_PAD src0_sel:DWORD src1_sel:WORD_1
	v_fma_f16 v63, v57, v77, -v63
	v_fma_f16 v33, v33, v57, v74
	global_load_dword v57, v71, s[12:13] offset:2164
	v_add_f16_e32 v70, v70, v75
	v_add_f16_e32 v70, v70, v76
	v_mul_f16_sdwa v74, v58, v66 dst_sel:DWORD dst_unused:UNUSED_PAD src0_sel:WORD_1 src1_sel:DWORD
	s_waitcnt vmcnt(2)
	v_mul_f16_sdwa v76, v50, v72 dst_sel:DWORD dst_unused:UNUSED_PAD src0_sel:WORD_1 src1_sel:DWORD
	s_waitcnt lgkmcnt(0)
	v_mul_f16_sdwa v71, v56, v60 dst_sel:DWORD dst_unused:UNUSED_PAD src0_sel:WORD_1 src1_sel:DWORD
	v_fma_f16 v74, v34, v58, v74
	v_fma_f16 v76, v35, v50, v76
	v_mul_f16_sdwa v34, v34, v58 dst_sel:DWORD dst_unused:UNUSED_PAD src0_sel:DWORD src1_sel:WORD_1
	v_mul_f16_sdwa v35, v35, v50 dst_sel:DWORD dst_unused:UNUSED_PAD src0_sel:DWORD src1_sel:WORD_1
	v_fma_f16 v68, v54, s7, v68
	v_sub_f16_e32 v54, v65, v52
	v_add_f16_e32 v52, v65, v52
	v_mul_f16_sdwa v65, v27, v59 dst_sel:DWORD dst_unused:UNUSED_PAD src0_sel:DWORD src1_sel:WORD_1
	v_fma_f16 v71, v26, v56, v71
	v_fma_f16 v34, v58, v66, -v34
	v_fma_f16 v35, v50, v72, -v35
	v_mul_f16_sdwa v26, v26, v56 dst_sel:DWORD dst_unused:UNUSED_PAD src0_sel:DWORD src1_sel:WORD_1
	v_fma_f16 v65, v59, v64, -v65
	v_mul_f16_sdwa v64, v64, v59 dst_sel:DWORD dst_unused:UNUSED_PAD src0_sel:DWORD src1_sel:WORD_1
	v_fma_f16 v26, v56, v60, -v26
	v_add_f16_e32 v56, v34, v35
	v_fma_f16 v27, v27, v59, v64
	v_fma_f16 v56, v56, -0.5, v26
	v_add_f16_e32 v26, v26, v34
	v_add_f16_e32 v77, v74, v76
	v_sub_f16_e32 v50, v34, v35
	v_sub_f16_e32 v60, v74, v76
	v_add_f16_e32 v26, v26, v35
	v_add_f16_e32 v35, v33, v27
	v_sub_f16_e32 v75, v53, v70
	v_add_f16_e32 v53, v53, v70
	v_add_f16_e32 v70, v63, v65
	ds_read_u16 v12, v12
	v_fma_f16 v77, v77, -0.5, v71
	v_fma_f16 v66, v60, s6, v56
	v_fma_f16 v56, v60, s7, v56
	v_fma_f16 v35, v35, -0.5, v28
	v_add_f16_e32 v28, v28, v33
	v_fma_f16 v70, v70, -0.5, v82
	v_sub_f16_e32 v59, v33, v27
	v_fma_f16 v58, v50, s7, v77
	v_mul_f16_e32 v72, -0.5, v66
	v_fma_f16 v50, v50, s6, v77
	v_mul_f16_e32 v60, 0.5, v56
	v_add_f16_e32 v77, v82, v63
	v_sub_f16_e32 v63, v63, v65
	v_mul_f16_e32 v56, 0xbaee, v56
	v_add_f16_e32 v27, v28, v27
	v_add_f16_e32 v28, v71, v74
	v_fma_f16 v55, v55, s7, v69
	v_fma_f16 v64, v59, s6, v70
	v_fma_f16 v72, v58, s7, v72
	v_fma_f16 v60, v50, s7, v60
	v_add_f16_e32 v77, v77, v65
	v_fma_f16 v65, v63, s7, v35
	v_fma_f16 v35, v63, s6, v35
	v_fma_f16 v50, v50, 0.5, v56
	v_add_f16_e32 v28, v28, v76
	v_sub_f16_e32 v69, v55, v68
	v_sub_f16_e32 v81, v79, v80
	v_add_f16_e32 v55, v55, v68
	v_add_f16_e32 v68, v79, v80
	v_sub_f16_e32 v79, v64, v72
	v_sub_f16_e32 v56, v35, v50
	;; [unrolled: 1-line block ×3, first 2 shown]
	v_add_f16_e32 v63, v64, v72
	v_add_f16_e32 v35, v35, v50
	;; [unrolled: 1-line block ×3, first 2 shown]
	v_mul_f16_e32 v66, 0xbaee, v66
	v_fma_f16 v58, v58, -0.5, v66
	v_fma_f16 v59, v59, s7, v70
	v_sub_f16_e32 v66, v65, v58
	s_waitcnt vmcnt(1)
	v_mul_f16_sdwa v28, v25, v39 dst_sel:DWORD dst_unused:UNUSED_PAD src0_sel:DWORD src1_sel:WORD_1
	v_mul_f16_sdwa v50, v24, v41 dst_sel:DWORD dst_unused:UNUSED_PAD src0_sel:DWORD src1_sel:WORD_1
	v_mul_f16_sdwa v64, v78, v39 dst_sel:DWORD dst_unused:UNUSED_PAD src0_sel:DWORD src1_sel:WORD_1
	v_fma_f16 v28, v39, v78, -v28
	v_fma_f16 v50, v41, v62, -v50
	v_fma_f16 v25, v25, v39, v64
	v_mul_f16_sdwa v39, v62, v41 dst_sel:DWORD dst_unused:UNUSED_PAD src0_sel:DWORD src1_sel:WORD_1
	v_mul_f16_sdwa v62, v40, v67 dst_sel:DWORD dst_unused:UNUSED_PAD src0_sel:WORD_1 src1_sel:DWORD
	s_waitcnt vmcnt(0)
	v_mul_f16_sdwa v64, v57, v73 dst_sel:DWORD dst_unused:UNUSED_PAD src0_sel:WORD_1 src1_sel:DWORD
	v_mul_f16_sdwa v47, v38, v0 dst_sel:DWORD dst_unused:UNUSED_PAD src0_sel:WORD_1 src1_sel:DWORD
	v_fma_f16 v62, v21, v40, v62
	v_fma_f16 v64, v23, v57, v64
	v_mul_f16_sdwa v21, v21, v40 dst_sel:DWORD dst_unused:UNUSED_PAD src0_sel:DWORD src1_sel:WORD_1
	v_mul_f16_sdwa v23, v23, v57 dst_sel:DWORD dst_unused:UNUSED_PAD src0_sel:DWORD src1_sel:WORD_1
	v_fma_f16 v47, v22, v38, v47
	v_fma_f16 v21, v40, v67, -v21
	v_fma_f16 v23, v57, v73, -v23
	v_mul_f16_sdwa v22, v22, v38 dst_sel:DWORD dst_unused:UNUSED_PAD src0_sel:DWORD src1_sel:WORD_1
	v_fma_f16 v24, v24, v41, v39
	v_fma_f16 v0, v38, v0, -v22
	v_add_f16_e32 v22, v21, v23
	v_sub_f16_e32 v40, v21, v23
	v_fma_f16 v22, v22, -0.5, v0
	v_add_f16_e32 v0, v0, v21
	v_add_f16_e32 v21, v25, v24
	v_fma_f16 v21, v21, -0.5, v20
	v_add_f16_e32 v20, v20, v25
	v_sub_f16_e32 v39, v25, v24
	v_add_f16_e32 v24, v20, v24
	v_mul_hi_u32 v20, v7, s0
	v_add_f16_e32 v58, v65, v58
	v_add_f16_e32 v65, v62, v64
	v_sub_f16_e32 v38, v62, v64
	v_sub_f16_e32 v70, v59, v60
	v_add_f16_e32 v59, v59, v60
	v_add_f16_e32 v60, v28, v50
	v_fma_f16 v65, v65, -0.5, v47
	v_fma_f16 v67, v38, s6, v22
	v_fma_f16 v22, v38, s7, v22
	v_add_f16_e32 v0, v0, v23
	v_sub_f16_e32 v23, v28, v50
	v_lshrrev_b32_e32 v20, 9, v20
	s_waitcnt lgkmcnt(0)
	v_fma_f16 v60, v60, -0.5, v12
	v_fma_f16 v57, v40, s7, v65
	v_fma_f16 v40, v40, s6, v65
	v_mul_f16_e32 v38, 0.5, v22
	v_add_f16_e32 v12, v12, v28
	v_fma_f16 v28, v23, s7, v21
	v_fma_f16 v23, v23, s6, v21
	v_mul_f16_e32 v21, 0xbaee, v22
	v_mul_u32_u24_e32 v20, 0x21c, v20
	v_fma_f16 v38, v40, s7, v38
	v_fma_f16 v40, v40, 0.5, v21
	v_add_f16_e32 v21, v47, v62
	v_sub_u32_e32 v62, v7, v20
	v_add_f16_e32 v25, v21, v64
	v_mad_u64_u32 v[20:21], s[4:5], s2, v62, 0
	v_add_f16_e32 v12, v12, v50
	v_sub_f16_e32 v65, v12, v0
	v_add_f16_e32 v12, v12, v0
	v_mov_b32_e32 v0, v21
	v_mad_u64_u32 v[21:22], s[4:5], s3, v62, v[0:1]
	v_mov_b32_e32 v0, s11
	v_fma_f16 v41, v39, s6, v60
	v_fma_f16 v39, v39, s7, v60
	v_addc_co_u32_e32 v4, vcc, v0, v4, vcc
	v_lshlrev_b64 v[0:1], 2, v[1:2]
	v_mul_f16_e32 v71, -0.5, v67
	v_sub_f16_e32 v60, v39, v38
	v_mul_f16_e32 v50, 0xbaee, v67
	v_sub_f16_e32 v67, v23, v40
	v_add_f16_e32 v38, v39, v38
	v_add_f16_e32 v39, v23, v40
	v_add_u32_e32 v23, 0x21c, v62
	v_add_co_u32_e32 v0, vcc, v3, v0
	v_lshlrev_b64 v[2:3], 2, v[20:21]
	v_mad_u64_u32 v[20:21], s[4:5], s2, v23, 0
	v_add_f16_e32 v22, v24, v25
	v_addc_co_u32_e32 v1, vcc, v4, v1, vcc
	v_mov_b32_e32 v4, v21
	v_sub_f16_e32 v47, v24, v25
	v_pack_b32_f16 v12, v22, v12
	v_mad_u64_u32 v[21:22], s[4:5], s3, v23, v[4:5]
	v_add_u32_e32 v24, 0x438, v62
	v_mad_u64_u32 v[22:23], s[4:5], s2, v24, 0
	v_add_co_u32_e32 v2, vcc, v0, v2
	v_addc_co_u32_e32 v3, vcc, v1, v3, vcc
	v_mov_b32_e32 v4, v23
	global_store_dword v[2:3], v12, off
	v_lshlrev_b64 v[2:3], 2, v[20:21]
	v_mad_u64_u32 v[20:21], s[4:5], s3, v24, v[4:5]
	v_add_u32_e32 v12, 0x654, v62
	v_add_co_u32_e32 v2, vcc, v0, v2
	v_mov_b32_e32 v23, v20
	v_mad_u64_u32 v[20:21], s[4:5], s2, v12, 0
	v_addc_co_u32_e32 v3, vcc, v1, v3, vcc
	v_pack_b32_f16 v4, v39, v38
	global_store_dword v[2:3], v4, off
	v_mov_b32_e32 v4, v21
	v_lshlrev_b64 v[2:3], 2, v[22:23]
	v_mad_u64_u32 v[21:22], s[4:5], s3, v12, v[4:5]
	v_add_u32_e32 v12, 0x870, v62
	v_mad_u64_u32 v[22:23], s[4:5], s2, v12, 0
	v_fma_f16 v71, v57, s7, v71
	v_fma_f16 v50, v57, -0.5, v50
	v_sub_f16_e32 v72, v41, v71
	v_sub_f16_e32 v57, v28, v50
	v_add_f16_e32 v41, v41, v71
	v_add_f16_e32 v28, v28, v50
	v_add_co_u32_e32 v2, vcc, v0, v2
	v_addc_co_u32_e32 v3, vcc, v1, v3, vcc
	v_pack_b32_f16 v24, v28, v41
	v_mov_b32_e32 v4, v23
	global_store_dword v[2:3], v24, off
	v_lshlrev_b64 v[2:3], 2, v[20:21]
	v_mad_u64_u32 v[20:21], s[4:5], s3, v12, v[4:5]
	v_add_co_u32_e32 v2, vcc, v0, v2
	v_addc_co_u32_e32 v3, vcc, v1, v3, vcc
	v_pack_b32_f16 v4, v47, v65
	v_mov_b32_e32 v23, v20
	v_add_u32_e32 v12, 0xa8c, v62
	global_store_dword v[2:3], v4, off
	v_lshlrev_b64 v[2:3], 2, v[22:23]
	v_mad_u64_u32 v[20:21], s[4:5], s2, v12, 0
	v_add_u32_e32 v23, 0x6c, v7
	v_mul_hi_u32 v25, v23, s0
	v_mov_b32_e32 v4, v21
	v_mad_u64_u32 v[21:22], s[4:5], s3, v12, v[4:5]
	v_lshrrev_b32_e32 v4, 9, v25
	v_mul_u32_u24_e32 v12, 0x21c, v4
	v_sub_u32_e32 v12, v23, v12
	v_mad_u32_u24 v12, v4, s1, v12
	v_mad_u64_u32 v[22:23], s[4:5], s2, v12, 0
	v_add_co_u32_e32 v2, vcc, v0, v2
	v_addc_co_u32_e32 v3, vcc, v1, v3, vcc
	v_pack_b32_f16 v24, v67, v60
	v_mov_b32_e32 v4, v23
	global_store_dword v[2:3], v24, off
	v_lshlrev_b64 v[2:3], 2, v[20:21]
	v_mad_u64_u32 v[20:21], s[4:5], s3, v12, v[4:5]
	v_add_co_u32_e32 v2, vcc, v0, v2
	v_addc_co_u32_e32 v3, vcc, v1, v3, vcc
	v_pack_b32_f16 v4, v57, v72
	v_mov_b32_e32 v23, v20
	global_store_dword v[2:3], v4, off
	v_lshlrev_b64 v[2:3], 2, v[22:23]
	v_add_u32_e32 v22, 0x21c, v12
	v_mad_u64_u32 v[20:21], s[4:5], s2, v22, 0
	v_add_u32_e32 v25, 0x438, v12
	v_sub_f16_e32 v34, v77, v26
	v_mov_b32_e32 v4, v21
	v_mad_u64_u32 v[21:22], s[4:5], s3, v22, v[4:5]
	v_mad_u64_u32 v[22:23], s[4:5], s2, v25, 0
	v_add_f16_e32 v26, v77, v26
	v_add_co_u32_e32 v2, vcc, v0, v2
	v_addc_co_u32_e32 v3, vcc, v1, v3, vcc
	v_pack_b32_f16 v24, v27, v26
	v_mov_b32_e32 v4, v23
	global_store_dword v[2:3], v24, off
	v_lshlrev_b64 v[2:3], 2, v[20:21]
	v_mad_u64_u32 v[20:21], s[4:5], s3, v25, v[4:5]
	v_add_co_u32_e32 v2, vcc, v0, v2
	v_addc_co_u32_e32 v3, vcc, v1, v3, vcc
	v_pack_b32_f16 v4, v35, v59
	v_mov_b32_e32 v23, v20
	global_store_dword v[2:3], v4, off
	v_lshlrev_b64 v[2:3], 2, v[22:23]
	v_add_u32_e32 v22, 0x654, v12
	v_mad_u64_u32 v[20:21], s[4:5], s2, v22, 0
	v_add_u32_e32 v25, 0x870, v12
	v_add_co_u32_e32 v2, vcc, v0, v2
	v_mov_b32_e32 v4, v21
	v_mad_u64_u32 v[21:22], s[4:5], s3, v22, v[4:5]
	v_mad_u64_u32 v[22:23], s[4:5], s2, v25, 0
	v_addc_co_u32_e32 v3, vcc, v1, v3, vcc
	v_pack_b32_f16 v24, v58, v63
	v_mov_b32_e32 v4, v23
	global_store_dword v[2:3], v24, off
	v_lshlrev_b64 v[2:3], 2, v[20:21]
	v_mad_u64_u32 v[20:21], s[4:5], s3, v25, v[4:5]
	v_add_co_u32_e32 v2, vcc, v0, v2
	v_addc_co_u32_e32 v3, vcc, v1, v3, vcc
	v_pack_b32_f16 v4, v33, v34
	v_mov_b32_e32 v23, v20
	v_add_u32_e32 v12, 0xa8c, v12
	global_store_dword v[2:3], v4, off
	v_lshlrev_b64 v[2:3], 2, v[22:23]
	v_mad_u64_u32 v[20:21], s[4:5], s2, v12, 0
	v_add_u32_e32 v23, 0xd8, v7
	v_mul_hi_u32 v25, v23, s0
	v_mov_b32_e32 v4, v21
	v_mad_u64_u32 v[21:22], s[4:5], s3, v12, v[4:5]
	v_lshrrev_b32_e32 v4, 9, v25
	v_mul_u32_u24_e32 v12, 0x21c, v4
	v_sub_u32_e32 v12, v23, v12
	v_mad_u32_u24 v12, v4, s1, v12
	v_mad_u64_u32 v[22:23], s[4:5], s2, v12, 0
	v_add_co_u32_e32 v2, vcc, v0, v2
	v_addc_co_u32_e32 v3, vcc, v1, v3, vcc
	v_pack_b32_f16 v24, v56, v70
	v_mov_b32_e32 v4, v23
	global_store_dword v[2:3], v24, off
	v_lshlrev_b64 v[2:3], 2, v[20:21]
	v_mad_u64_u32 v[20:21], s[4:5], s3, v12, v[4:5]
	v_add_co_u32_e32 v2, vcc, v0, v2
	v_addc_co_u32_e32 v3, vcc, v1, v3, vcc
	v_pack_b32_f16 v4, v66, v79
	v_mov_b32_e32 v23, v20
	global_store_dword v[2:3], v4, off
	v_lshlrev_b64 v[2:3], 2, v[22:23]
	v_add_u32_e32 v22, 0x21c, v12
	v_mad_u64_u32 v[20:21], s[4:5], s2, v22, 0
	v_add_u32_e32 v25, 0x438, v12
	v_add_co_u32_e32 v2, vcc, v0, v2
	v_mov_b32_e32 v4, v21
	v_mad_u64_u32 v[21:22], s[4:5], s3, v22, v[4:5]
	v_mad_u64_u32 v[22:23], s[4:5], s2, v25, 0
	v_addc_co_u32_e32 v3, vcc, v1, v3, vcc
	v_pack_b32_f16 v24, v53, v68
	v_mov_b32_e32 v4, v23
	global_store_dword v[2:3], v24, off
	v_lshlrev_b64 v[2:3], 2, v[20:21]
	v_mad_u64_u32 v[20:21], s[4:5], s3, v25, v[4:5]
	v_add_co_u32_e32 v2, vcc, v0, v2
	v_addc_co_u32_e32 v3, vcc, v1, v3, vcc
	v_pack_b32_f16 v4, v52, v55
	v_mov_b32_e32 v23, v20
	global_store_dword v[2:3], v4, off
	v_lshlrev_b64 v[2:3], 2, v[22:23]
	v_add_u32_e32 v22, 0x654, v12
	v_mad_u64_u32 v[20:21], s[4:5], s2, v22, 0
	v_add_u32_e32 v25, 0x870, v12
	v_add_co_u32_e32 v2, vcc, v0, v2
	v_mov_b32_e32 v4, v21
	v_mad_u64_u32 v[21:22], s[4:5], s3, v22, v[4:5]
	v_mad_u64_u32 v[22:23], s[4:5], s2, v25, 0
	v_addc_co_u32_e32 v3, vcc, v1, v3, vcc
	v_pack_b32_f16 v24, v61, v51
	v_mov_b32_e32 v4, v23
	global_store_dword v[2:3], v24, off
	v_lshlrev_b64 v[2:3], 2, v[20:21]
	v_mad_u64_u32 v[20:21], s[4:5], s3, v25, v[4:5]
	v_add_co_u32_e32 v2, vcc, v0, v2
	v_addc_co_u32_e32 v3, vcc, v1, v3, vcc
	v_pack_b32_f16 v4, v75, v81
	v_mov_b32_e32 v23, v20
	v_add_u32_e32 v12, 0xa8c, v12
	global_store_dword v[2:3], v4, off
	v_lshlrev_b64 v[2:3], 2, v[22:23]
	v_mad_u64_u32 v[20:21], s[4:5], s2, v12, 0
	v_add_u32_e32 v23, 0x144, v7
	v_mul_hi_u32 v25, v23, s0
	v_mov_b32_e32 v4, v21
	v_mad_u64_u32 v[21:22], s[4:5], s3, v12, v[4:5]
	v_lshrrev_b32_e32 v4, 9, v25
	v_mul_u32_u24_e32 v12, 0x21c, v4
	v_sub_u32_e32 v12, v23, v12
	v_mad_u32_u24 v12, v4, s1, v12
	v_mad_u64_u32 v[22:23], s[4:5], s2, v12, 0
	v_add_co_u32_e32 v2, vcc, v0, v2
	v_addc_co_u32_e32 v3, vcc, v1, v3, vcc
	v_pack_b32_f16 v24, v54, v69
	v_mov_b32_e32 v4, v23
	global_store_dword v[2:3], v24, off
	v_lshlrev_b64 v[2:3], 2, v[20:21]
	v_mad_u64_u32 v[20:21], s[4:5], s3, v12, v[4:5]
	v_add_co_u32_e32 v2, vcc, v0, v2
	v_addc_co_u32_e32 v3, vcc, v1, v3, vcc
	v_pack_b32_f16 v4, v37, v36
	v_mov_b32_e32 v23, v20
	global_store_dword v[2:3], v4, off
	v_lshlrev_b64 v[2:3], 2, v[22:23]
	v_add_u32_e32 v22, 0x21c, v12
	v_mad_u64_u32 v[20:21], s[4:5], s2, v22, 0
	v_add_u32_e32 v25, 0x438, v12
	v_add_co_u32_e32 v2, vcc, v0, v2
	v_mov_b32_e32 v4, v21
	v_mad_u64_u32 v[21:22], s[4:5], s3, v22, v[4:5]
	v_mad_u64_u32 v[22:23], s[4:5], s2, v25, 0
	v_addc_co_u32_e32 v3, vcc, v1, v3, vcc
	v_pack_b32_f16 v24, v49, v48
	v_mov_b32_e32 v4, v23
	global_store_dword v[2:3], v24, off
	v_lshlrev_b64 v[2:3], 2, v[20:21]
	v_mad_u64_u32 v[20:21], s[4:5], s3, v25, v[4:5]
	v_pack_b32_f16 v4, v8, v6
	v_add_u32_e32 v6, 0x654, v12
	v_mov_b32_e32 v23, v20
	v_mad_u64_u32 v[20:21], s[4:5], s2, v6, 0
	v_add_co_u32_e32 v2, vcc, v0, v2
	v_addc_co_u32_e32 v3, vcc, v1, v3, vcc
	global_store_dword v[2:3], v4, off
	v_mov_b32_e32 v4, v21
	v_lshlrev_b64 v[2:3], 2, v[22:23]
	v_pack_b32_f16 v8, v5, v46
	v_mad_u64_u32 v[4:5], s[4:5], s3, v6, v[4:5]
	v_add_u32_e32 v22, 0x870, v12
	v_mad_u64_u32 v[5:6], s[4:5], s2, v22, 0
	v_add_co_u32_e32 v2, vcc, v0, v2
	v_addc_co_u32_e32 v3, vcc, v1, v3, vcc
	v_mov_b32_e32 v21, v4
	v_mov_b32_e32 v4, v6
	global_store_dword v[2:3], v8, off
	v_lshlrev_b64 v[2:3], 2, v[20:21]
	v_mad_u64_u32 v[20:21], s[4:5], s3, v22, v[4:5]
	v_add_co_u32_e32 v2, vcc, v0, v2
	v_addc_co_u32_e32 v3, vcc, v1, v3, vcc
	v_pack_b32_f16 v4, v42, v45
	v_mov_b32_e32 v6, v20
	global_store_dword v[2:3], v4, off
	v_lshlrev_b64 v[2:3], 2, v[5:6]
	v_add_u32_e32 v6, 0xa8c, v12
	v_mad_u64_u32 v[4:5], s[4:5], s2, v6, 0
	v_add_co_u32_e32 v2, vcc, v0, v2
	v_mad_u64_u32 v[5:6], s[4:5], s3, v6, v[5:6]
	v_add_u32_e32 v6, 0x1b0, v7
	v_mul_hi_u32 v7, v6, s0
	v_addc_co_u32_e32 v3, vcc, v1, v3, vcc
	v_pack_b32_f16 v8, v44, v43
	global_store_dword v[2:3], v8, off
	v_lshlrev_b64 v[2:3], 2, v[4:5]
	v_lshrrev_b32_e32 v4, 9, v7
	v_mul_u32_u24_e32 v5, 0x21c, v4
	v_sub_u32_e32 v5, v6, v5
	v_mad_u32_u24 v8, v4, s1, v5
	v_mad_u64_u32 v[4:5], s[0:1], s2, v8, 0
	v_add_u32_e32 v12, 0x21c, v8
	v_add_co_u32_e32 v2, vcc, v0, v2
	v_mad_u64_u32 v[5:6], s[0:1], s3, v8, v[5:6]
	v_mad_u64_u32 v[6:7], s[0:1], s2, v12, 0
	v_addc_co_u32_e32 v3, vcc, v1, v3, vcc
	global_store_dword v[2:3], v9, off
	v_lshlrev_b64 v[2:3], 2, v[4:5]
	v_mov_b32_e32 v4, v7
	v_mad_u64_u32 v[4:5], s[0:1], s3, v12, v[4:5]
	v_add_co_u32_e32 v2, vcc, v0, v2
	v_addc_co_u32_e32 v3, vcc, v1, v3, vcc
	v_pack_b32_f16 v5, v32, v31
	v_mov_b32_e32 v7, v4
	global_store_dword v[2:3], v5, off
	v_lshlrev_b64 v[2:3], 2, v[6:7]
	v_add_u32_e32 v6, 0x438, v8
	v_mad_u64_u32 v[4:5], s[0:1], s2, v6, 0
	v_add_u32_e32 v12, 0x654, v8
	v_add_co_u32_e32 v2, vcc, v0, v2
	v_mad_u64_u32 v[5:6], s[0:1], s3, v6, v[5:6]
	v_mad_u64_u32 v[6:7], s[0:1], s2, v12, 0
	v_addc_co_u32_e32 v3, vcc, v1, v3, vcc
	v_pack_b32_f16 v9, v30, v29
	global_store_dword v[2:3], v9, off
	v_lshlrev_b64 v[2:3], 2, v[4:5]
	v_mov_b32_e32 v4, v7
	v_mad_u64_u32 v[4:5], s[0:1], s3, v12, v[4:5]
	v_add_co_u32_e32 v2, vcc, v0, v2
	v_addc_co_u32_e32 v3, vcc, v1, v3, vcc
	v_pack_b32_f16 v5, v19, v18
	v_mov_b32_e32 v7, v4
	global_store_dword v[2:3], v5, off
	v_lshlrev_b64 v[2:3], 2, v[6:7]
	v_add_u32_e32 v6, 0x870, v8
	v_mad_u64_u32 v[4:5], s[0:1], s2, v6, 0
	v_add_u32_e32 v8, 0xa8c, v8
	v_add_co_u32_e32 v2, vcc, v0, v2
	v_mad_u64_u32 v[5:6], s[0:1], s3, v6, v[5:6]
	v_mad_u64_u32 v[6:7], s[0:1], s2, v8, 0
	v_addc_co_u32_e32 v3, vcc, v1, v3, vcc
	v_pack_b32_f16 v9, v17, v16
	global_store_dword v[2:3], v9, off
	v_lshlrev_b64 v[2:3], 2, v[4:5]
	v_mov_b32_e32 v4, v7
	v_mad_u64_u32 v[4:5], s[0:1], s3, v8, v[4:5]
	v_add_co_u32_e32 v2, vcc, v0, v2
	v_addc_co_u32_e32 v3, vcc, v1, v3, vcc
	v_pack_b32_f16 v5, v15, v11
	v_mov_b32_e32 v7, v4
	global_store_dword v[2:3], v5, off
	v_lshlrev_b64 v[2:3], 2, v[6:7]
	v_add_co_u32_e32 v0, vcc, v0, v2
	v_addc_co_u32_e32 v1, vcc, v1, v3, vcc
	v_pack_b32_f16 v2, v14, v10
	global_store_dword v[0:1], v2, off
.LBB0_15:
	s_endpgm
	.section	.rodata,"a",@progbits
	.p2align	6, 0x0
	.amdhsa_kernel fft_rtc_back_len3240_factors_3_3_10_6_6_wgs_108_tpt_108_halfLds_half_op_CI_CI_sbrr_dirReg
		.amdhsa_group_segment_fixed_size 0
		.amdhsa_private_segment_fixed_size 0
		.amdhsa_kernarg_size 104
		.amdhsa_user_sgpr_count 6
		.amdhsa_user_sgpr_private_segment_buffer 1
		.amdhsa_user_sgpr_dispatch_ptr 0
		.amdhsa_user_sgpr_queue_ptr 0
		.amdhsa_user_sgpr_kernarg_segment_ptr 1
		.amdhsa_user_sgpr_dispatch_id 0
		.amdhsa_user_sgpr_flat_scratch_init 0
		.amdhsa_user_sgpr_private_segment_size 0
		.amdhsa_uses_dynamic_stack 0
		.amdhsa_system_sgpr_private_segment_wavefront_offset 0
		.amdhsa_system_sgpr_workgroup_id_x 1
		.amdhsa_system_sgpr_workgroup_id_y 0
		.amdhsa_system_sgpr_workgroup_id_z 0
		.amdhsa_system_sgpr_workgroup_info 0
		.amdhsa_system_vgpr_workitem_id 0
		.amdhsa_next_free_vgpr 127
		.amdhsa_next_free_sgpr 32
		.amdhsa_reserve_vcc 1
		.amdhsa_reserve_flat_scratch 0
		.amdhsa_float_round_mode_32 0
		.amdhsa_float_round_mode_16_64 0
		.amdhsa_float_denorm_mode_32 3
		.amdhsa_float_denorm_mode_16_64 3
		.amdhsa_dx10_clamp 1
		.amdhsa_ieee_mode 1
		.amdhsa_fp16_overflow 0
		.amdhsa_exception_fp_ieee_invalid_op 0
		.amdhsa_exception_fp_denorm_src 0
		.amdhsa_exception_fp_ieee_div_zero 0
		.amdhsa_exception_fp_ieee_overflow 0
		.amdhsa_exception_fp_ieee_underflow 0
		.amdhsa_exception_fp_ieee_inexact 0
		.amdhsa_exception_int_div_zero 0
	.end_amdhsa_kernel
	.text
.Lfunc_end0:
	.size	fft_rtc_back_len3240_factors_3_3_10_6_6_wgs_108_tpt_108_halfLds_half_op_CI_CI_sbrr_dirReg, .Lfunc_end0-fft_rtc_back_len3240_factors_3_3_10_6_6_wgs_108_tpt_108_halfLds_half_op_CI_CI_sbrr_dirReg
                                        ; -- End function
	.section	.AMDGPU.csdata,"",@progbits
; Kernel info:
; codeLenInByte = 21396
; NumSgprs: 36
; NumVgprs: 127
; ScratchSize: 0
; MemoryBound: 0
; FloatMode: 240
; IeeeMode: 1
; LDSByteSize: 0 bytes/workgroup (compile time only)
; SGPRBlocks: 4
; VGPRBlocks: 31
; NumSGPRsForWavesPerEU: 36
; NumVGPRsForWavesPerEU: 127
; Occupancy: 2
; WaveLimiterHint : 1
; COMPUTE_PGM_RSRC2:SCRATCH_EN: 0
; COMPUTE_PGM_RSRC2:USER_SGPR: 6
; COMPUTE_PGM_RSRC2:TRAP_HANDLER: 0
; COMPUTE_PGM_RSRC2:TGID_X_EN: 1
; COMPUTE_PGM_RSRC2:TGID_Y_EN: 0
; COMPUTE_PGM_RSRC2:TGID_Z_EN: 0
; COMPUTE_PGM_RSRC2:TIDIG_COMP_CNT: 0
	.type	__hip_cuid_370f96faf18c66ad,@object ; @__hip_cuid_370f96faf18c66ad
	.section	.bss,"aw",@nobits
	.globl	__hip_cuid_370f96faf18c66ad
__hip_cuid_370f96faf18c66ad:
	.byte	0                               ; 0x0
	.size	__hip_cuid_370f96faf18c66ad, 1

	.ident	"AMD clang version 19.0.0git (https://github.com/RadeonOpenCompute/llvm-project roc-6.4.0 25133 c7fe45cf4b819c5991fe208aaa96edf142730f1d)"
	.section	".note.GNU-stack","",@progbits
	.addrsig
	.addrsig_sym __hip_cuid_370f96faf18c66ad
	.amdgpu_metadata
---
amdhsa.kernels:
  - .args:
      - .actual_access:  read_only
        .address_space:  global
        .offset:         0
        .size:           8
        .value_kind:     global_buffer
      - .offset:         8
        .size:           8
        .value_kind:     by_value
      - .actual_access:  read_only
        .address_space:  global
        .offset:         16
        .size:           8
        .value_kind:     global_buffer
      - .actual_access:  read_only
        .address_space:  global
        .offset:         24
        .size:           8
        .value_kind:     global_buffer
      - .actual_access:  read_only
        .address_space:  global
        .offset:         32
        .size:           8
        .value_kind:     global_buffer
      - .offset:         40
        .size:           8
        .value_kind:     by_value
      - .actual_access:  read_only
        .address_space:  global
        .offset:         48
        .size:           8
        .value_kind:     global_buffer
      - .actual_access:  read_only
        .address_space:  global
        .offset:         56
        .size:           8
        .value_kind:     global_buffer
      - .offset:         64
        .size:           4
        .value_kind:     by_value
      - .actual_access:  read_only
        .address_space:  global
        .offset:         72
        .size:           8
        .value_kind:     global_buffer
      - .actual_access:  read_only
        .address_space:  global
        .offset:         80
        .size:           8
        .value_kind:     global_buffer
      - .actual_access:  read_only
        .address_space:  global
        .offset:         88
        .size:           8
        .value_kind:     global_buffer
      - .actual_access:  write_only
        .address_space:  global
        .offset:         96
        .size:           8
        .value_kind:     global_buffer
    .group_segment_fixed_size: 0
    .kernarg_segment_align: 8
    .kernarg_segment_size: 104
    .language:       OpenCL C
    .language_version:
      - 2
      - 0
    .max_flat_workgroup_size: 108
    .name:           fft_rtc_back_len3240_factors_3_3_10_6_6_wgs_108_tpt_108_halfLds_half_op_CI_CI_sbrr_dirReg
    .private_segment_fixed_size: 0
    .sgpr_count:     36
    .sgpr_spill_count: 0
    .symbol:         fft_rtc_back_len3240_factors_3_3_10_6_6_wgs_108_tpt_108_halfLds_half_op_CI_CI_sbrr_dirReg.kd
    .uniform_work_group_size: 1
    .uses_dynamic_stack: false
    .vgpr_count:     127
    .vgpr_spill_count: 0
    .wavefront_size: 64
amdhsa.target:   amdgcn-amd-amdhsa--gfx906
amdhsa.version:
  - 1
  - 2
...

	.end_amdgpu_metadata
